;; amdgpu-corpus repo=ROCm/rocFFT kind=compiled arch=gfx906 opt=O3
	.text
	.amdgcn_target "amdgcn-amd-amdhsa--gfx906"
	.amdhsa_code_object_version 6
	.protected	fft_rtc_fwd_len1404_factors_2_2_3_13_3_3_wgs_117_tpt_117_halfLds_half_op_CI_CI_unitstride_sbrr_R2C_dirReg ; -- Begin function fft_rtc_fwd_len1404_factors_2_2_3_13_3_3_wgs_117_tpt_117_halfLds_half_op_CI_CI_unitstride_sbrr_R2C_dirReg
	.globl	fft_rtc_fwd_len1404_factors_2_2_3_13_3_3_wgs_117_tpt_117_halfLds_half_op_CI_CI_unitstride_sbrr_R2C_dirReg
	.p2align	8
	.type	fft_rtc_fwd_len1404_factors_2_2_3_13_3_3_wgs_117_tpt_117_halfLds_half_op_CI_CI_unitstride_sbrr_R2C_dirReg,@function
fft_rtc_fwd_len1404_factors_2_2_3_13_3_3_wgs_117_tpt_117_halfLds_half_op_CI_CI_unitstride_sbrr_R2C_dirReg: ; @fft_rtc_fwd_len1404_factors_2_2_3_13_3_3_wgs_117_tpt_117_halfLds_half_op_CI_CI_unitstride_sbrr_R2C_dirReg
; %bb.0:
	s_load_dwordx4 s[8:11], s[4:5], 0x58
	s_load_dwordx4 s[12:15], s[4:5], 0x0
	;; [unrolled: 1-line block ×3, first 2 shown]
	v_mul_u32_u24_e32 v1, 0x231, v0
	v_mov_b32_e32 v5, 0
	v_mov_b32_e32 v14, 0
	s_waitcnt lgkmcnt(0)
	v_cmp_lt_u64_e64 s[0:1], s[14:15], 2
	v_add_u32_sdwa v7, s6, v1 dst_sel:DWORD dst_unused:UNUSED_PAD src0_sel:DWORD src1_sel:WORD_1
	v_mov_b32_e32 v8, v5
	s_and_b64 vcc, exec, s[0:1]
	v_mov_b32_e32 v15, 0
	s_cbranch_vccnz .LBB0_8
; %bb.1:
	s_load_dwordx2 s[0:1], s[4:5], 0x10
	s_add_u32 s2, s18, 8
	s_addc_u32 s3, s19, 0
	s_add_u32 s6, s16, 8
	s_addc_u32 s7, s17, 0
	v_mov_b32_e32 v14, 0
	s_waitcnt lgkmcnt(0)
	s_add_u32 s20, s0, 8
	v_mov_b32_e32 v15, 0
	v_mov_b32_e32 v1, v14
	s_addc_u32 s21, s1, 0
	s_mov_b64 s[22:23], 1
	v_mov_b32_e32 v2, v15
.LBB0_2:                                ; =>This Inner Loop Header: Depth=1
	s_load_dwordx2 s[24:25], s[20:21], 0x0
                                        ; implicit-def: $vgpr3_vgpr4
	s_waitcnt lgkmcnt(0)
	v_or_b32_e32 v6, s25, v8
	v_cmp_ne_u64_e32 vcc, 0, v[5:6]
	s_and_saveexec_b64 s[0:1], vcc
	s_xor_b64 s[26:27], exec, s[0:1]
	s_cbranch_execz .LBB0_4
; %bb.3:                                ;   in Loop: Header=BB0_2 Depth=1
	v_cvt_f32_u32_e32 v3, s24
	v_cvt_f32_u32_e32 v4, s25
	s_sub_u32 s0, 0, s24
	s_subb_u32 s1, 0, s25
	v_mac_f32_e32 v3, 0x4f800000, v4
	v_rcp_f32_e32 v3, v3
	v_mul_f32_e32 v3, 0x5f7ffffc, v3
	v_mul_f32_e32 v4, 0x2f800000, v3
	v_trunc_f32_e32 v4, v4
	v_mac_f32_e32 v3, 0xcf800000, v4
	v_cvt_u32_f32_e32 v4, v4
	v_cvt_u32_f32_e32 v3, v3
	v_mul_lo_u32 v6, s0, v4
	v_mul_hi_u32 v9, s0, v3
	v_mul_lo_u32 v11, s1, v3
	v_mul_lo_u32 v10, s0, v3
	v_add_u32_e32 v6, v9, v6
	v_add_u32_e32 v6, v6, v11
	v_mul_hi_u32 v9, v3, v10
	v_mul_lo_u32 v11, v3, v6
	v_mul_hi_u32 v13, v3, v6
	v_mul_hi_u32 v12, v4, v10
	v_mul_lo_u32 v10, v4, v10
	v_mul_hi_u32 v16, v4, v6
	v_add_co_u32_e32 v9, vcc, v9, v11
	v_addc_co_u32_e32 v11, vcc, 0, v13, vcc
	v_mul_lo_u32 v6, v4, v6
	v_add_co_u32_e32 v9, vcc, v9, v10
	v_addc_co_u32_e32 v9, vcc, v11, v12, vcc
	v_addc_co_u32_e32 v10, vcc, 0, v16, vcc
	v_add_co_u32_e32 v6, vcc, v9, v6
	v_addc_co_u32_e32 v9, vcc, 0, v10, vcc
	v_add_co_u32_e32 v3, vcc, v3, v6
	v_addc_co_u32_e32 v4, vcc, v4, v9, vcc
	v_mul_lo_u32 v6, s0, v4
	v_mul_hi_u32 v9, s0, v3
	v_mul_lo_u32 v10, s1, v3
	v_mul_lo_u32 v11, s0, v3
	v_add_u32_e32 v6, v9, v6
	v_add_u32_e32 v6, v6, v10
	v_mul_lo_u32 v12, v3, v6
	v_mul_hi_u32 v13, v3, v11
	v_mul_hi_u32 v16, v3, v6
	v_mul_hi_u32 v10, v4, v11
	v_mul_lo_u32 v11, v4, v11
	v_mul_hi_u32 v9, v4, v6
	v_add_co_u32_e32 v12, vcc, v13, v12
	v_addc_co_u32_e32 v13, vcc, 0, v16, vcc
	v_mul_lo_u32 v6, v4, v6
	v_add_co_u32_e32 v11, vcc, v12, v11
	v_addc_co_u32_e32 v10, vcc, v13, v10, vcc
	v_addc_co_u32_e32 v9, vcc, 0, v9, vcc
	v_add_co_u32_e32 v6, vcc, v10, v6
	v_addc_co_u32_e32 v9, vcc, 0, v9, vcc
	v_add_co_u32_e32 v6, vcc, v3, v6
	v_addc_co_u32_e32 v9, vcc, v4, v9, vcc
	v_mad_u64_u32 v[3:4], s[0:1], v7, v9, 0
	v_mul_hi_u32 v10, v7, v6
	v_add_co_u32_e32 v11, vcc, v10, v3
	v_addc_co_u32_e32 v12, vcc, 0, v4, vcc
	v_mad_u64_u32 v[3:4], s[0:1], v8, v6, 0
	v_mad_u64_u32 v[9:10], s[0:1], v8, v9, 0
	v_add_co_u32_e32 v3, vcc, v11, v3
	v_addc_co_u32_e32 v3, vcc, v12, v4, vcc
	v_addc_co_u32_e32 v4, vcc, 0, v10, vcc
	v_add_co_u32_e32 v6, vcc, v3, v9
	v_addc_co_u32_e32 v9, vcc, 0, v4, vcc
	v_mul_lo_u32 v10, s25, v6
	v_mul_lo_u32 v11, s24, v9
	v_mad_u64_u32 v[3:4], s[0:1], s24, v6, 0
	v_add3_u32 v4, v4, v11, v10
	v_sub_u32_e32 v10, v8, v4
	v_mov_b32_e32 v11, s25
	v_sub_co_u32_e32 v3, vcc, v7, v3
	v_subb_co_u32_e64 v10, s[0:1], v10, v11, vcc
	v_subrev_co_u32_e64 v11, s[0:1], s24, v3
	v_subbrev_co_u32_e64 v10, s[0:1], 0, v10, s[0:1]
	v_cmp_le_u32_e64 s[0:1], s25, v10
	v_cndmask_b32_e64 v12, 0, -1, s[0:1]
	v_cmp_le_u32_e64 s[0:1], s24, v11
	v_cndmask_b32_e64 v11, 0, -1, s[0:1]
	v_cmp_eq_u32_e64 s[0:1], s25, v10
	v_cndmask_b32_e64 v10, v12, v11, s[0:1]
	v_add_co_u32_e64 v11, s[0:1], 2, v6
	v_addc_co_u32_e64 v12, s[0:1], 0, v9, s[0:1]
	v_add_co_u32_e64 v13, s[0:1], 1, v6
	v_addc_co_u32_e64 v16, s[0:1], 0, v9, s[0:1]
	v_subb_co_u32_e32 v4, vcc, v8, v4, vcc
	v_cmp_ne_u32_e64 s[0:1], 0, v10
	v_cmp_le_u32_e32 vcc, s25, v4
	v_cndmask_b32_e64 v10, v16, v12, s[0:1]
	v_cndmask_b32_e64 v12, 0, -1, vcc
	v_cmp_le_u32_e32 vcc, s24, v3
	v_cndmask_b32_e64 v3, 0, -1, vcc
	v_cmp_eq_u32_e32 vcc, s25, v4
	v_cndmask_b32_e32 v3, v12, v3, vcc
	v_cmp_ne_u32_e32 vcc, 0, v3
	v_cndmask_b32_e64 v3, v13, v11, s[0:1]
	v_cndmask_b32_e32 v4, v9, v10, vcc
	v_cndmask_b32_e32 v3, v6, v3, vcc
.LBB0_4:                                ;   in Loop: Header=BB0_2 Depth=1
	s_andn2_saveexec_b64 s[0:1], s[26:27]
	s_cbranch_execz .LBB0_6
; %bb.5:                                ;   in Loop: Header=BB0_2 Depth=1
	v_cvt_f32_u32_e32 v3, s24
	s_sub_i32 s26, 0, s24
	v_rcp_iflag_f32_e32 v3, v3
	v_mul_f32_e32 v3, 0x4f7ffffe, v3
	v_cvt_u32_f32_e32 v3, v3
	v_mul_lo_u32 v4, s26, v3
	v_mul_hi_u32 v4, v3, v4
	v_add_u32_e32 v3, v3, v4
	v_mul_hi_u32 v3, v7, v3
	v_mul_lo_u32 v4, v3, s24
	v_add_u32_e32 v6, 1, v3
	v_sub_u32_e32 v4, v7, v4
	v_subrev_u32_e32 v9, s24, v4
	v_cmp_le_u32_e32 vcc, s24, v4
	v_cndmask_b32_e32 v4, v4, v9, vcc
	v_cndmask_b32_e32 v3, v3, v6, vcc
	v_add_u32_e32 v6, 1, v3
	v_cmp_le_u32_e32 vcc, s24, v4
	v_cndmask_b32_e32 v3, v3, v6, vcc
	v_mov_b32_e32 v4, v5
.LBB0_6:                                ;   in Loop: Header=BB0_2 Depth=1
	s_or_b64 exec, exec, s[0:1]
	v_mul_lo_u32 v6, v4, s24
	v_mul_lo_u32 v11, v3, s25
	v_mad_u64_u32 v[9:10], s[0:1], v3, s24, 0
	s_load_dwordx2 s[0:1], s[6:7], 0x0
	s_load_dwordx2 s[24:25], s[2:3], 0x0
	v_add3_u32 v6, v10, v11, v6
	v_sub_co_u32_e32 v7, vcc, v7, v9
	v_subb_co_u32_e32 v6, vcc, v8, v6, vcc
	s_waitcnt lgkmcnt(0)
	v_mul_lo_u32 v8, s0, v6
	v_mul_lo_u32 v9, s1, v7
	v_mad_u64_u32 v[14:15], s[0:1], s0, v7, v[14:15]
	v_mul_lo_u32 v6, s24, v6
	v_mul_lo_u32 v10, s25, v7
	v_mad_u64_u32 v[1:2], s[0:1], s24, v7, v[1:2]
	s_add_u32 s22, s22, 1
	s_addc_u32 s23, s23, 0
	s_add_u32 s2, s2, 8
	v_add3_u32 v2, v10, v2, v6
	s_addc_u32 s3, s3, 0
	v_mov_b32_e32 v6, s14
	s_add_u32 s6, s6, 8
	v_mov_b32_e32 v7, s15
	s_addc_u32 s7, s7, 0
	v_cmp_ge_u64_e32 vcc, s[22:23], v[6:7]
	s_add_u32 s20, s20, 8
	v_add3_u32 v15, v9, v15, v8
	s_addc_u32 s21, s21, 0
	s_cbranch_vccnz .LBB0_9
; %bb.7:                                ;   in Loop: Header=BB0_2 Depth=1
	v_mov_b32_e32 v8, v4
	v_mov_b32_e32 v7, v3
	s_branch .LBB0_2
.LBB0_8:
	v_mov_b32_e32 v1, v14
	v_mov_b32_e32 v3, v7
	;; [unrolled: 1-line block ×4, first 2 shown]
.LBB0_9:
	s_load_dwordx2 s[4:5], s[4:5], 0x28
	s_lshl_b64 s[6:7], s[14:15], 3
	s_add_u32 s2, s18, s6
	s_addc_u32 s3, s19, s7
                                        ; implicit-def: $vgpr5
                                        ; implicit-def: $vgpr7
                                        ; implicit-def: $vgpr13
                                        ; implicit-def: $vgpr12
                                        ; implicit-def: $vgpr9
                                        ; implicit-def: $vgpr11
	s_waitcnt lgkmcnt(0)
	v_cmp_gt_u64_e64 s[0:1], s[4:5], v[3:4]
	v_cmp_le_u64_e32 vcc, s[4:5], v[3:4]
	s_and_saveexec_b64 s[4:5], vcc
	s_xor_b64 s[4:5], exec, s[4:5]
; %bb.10:
	s_mov_b32 s14, 0x2302303
	v_mul_hi_u32 v5, v0, s14
                                        ; implicit-def: $vgpr14_vgpr15
	v_mul_u32_u24_e32 v5, 0x75, v5
	v_sub_u32_e32 v5, v0, v5
	v_add_u32_e32 v7, 0x75, v5
	v_add_u32_e32 v13, 0xea, v5
	;; [unrolled: 1-line block ×5, first 2 shown]
                                        ; implicit-def: $vgpr0
; %bb.11:
	s_andn2_saveexec_b64 s[4:5], s[4:5]
	s_cbranch_execz .LBB0_13
; %bb.12:
	s_add_u32 s6, s16, s6
	s_addc_u32 s7, s17, s7
	s_load_dwordx2 s[6:7], s[6:7], 0x0
	s_mov_b32 s14, 0x2302303
	v_mul_hi_u32 v5, v0, s14
	s_waitcnt lgkmcnt(0)
	v_mul_lo_u32 v8, s7, v3
	v_mul_lo_u32 v9, s6, v4
	v_mad_u64_u32 v[6:7], s[6:7], s6, v3, 0
	v_mul_u32_u24_e32 v5, 0x75, v5
	v_sub_u32_e32 v5, v0, v5
	v_add3_u32 v7, v7, v9, v8
	v_lshlrev_b64 v[6:7], 2, v[6:7]
	v_mov_b32_e32 v0, s9
	v_add_co_u32_e32 v8, vcc, s8, v6
	v_addc_co_u32_e32 v0, vcc, v0, v7, vcc
	v_lshlrev_b64 v[6:7], 2, v[14:15]
	v_lshlrev_b32_e32 v10, 2, v5
	v_add_co_u32_e32 v6, vcc, v8, v6
	v_addc_co_u32_e32 v0, vcc, v0, v7, vcc
	v_add_co_u32_e32 v6, vcc, v6, v10
	v_addc_co_u32_e32 v7, vcc, 0, v0, vcc
	v_add_co_u32_e32 v8, vcc, 0x1000, v6
	global_load_dword v0, v[6:7], off
	global_load_dword v14, v[6:7], off offset:468
	global_load_dword v15, v[6:7], off offset:936
	;; [unrolled: 1-line block ×7, first 2 shown]
	v_addc_co_u32_e32 v9, vcc, 0, v7, vcc
	global_load_dword v21, v[6:7], off offset:3744
	global_load_dword v22, v[8:9], off offset:116
	;; [unrolled: 1-line block ×4, first 2 shown]
	v_add_u32_e32 v6, 0, v10
	v_add_u32_e32 v7, 0x75, v5
	;; [unrolled: 1-line block ×11, first 2 shown]
	s_waitcnt vmcnt(8)
	ds_write2_b32 v8, v15, v16 offset0:106 offset1:223
	ds_write2_b32 v6, v0, v14 offset1:117
	s_waitcnt vmcnt(6)
	ds_write2_b32 v10, v17, v18 offset0:84 offset1:201
	s_waitcnt vmcnt(4)
	ds_write2_b32 v25, v19, v20 offset0:62 offset1:179
	;; [unrolled: 2-line block ×4, first 2 shown]
.LBB0_13:
	s_or_b64 exec, exec, s[4:5]
	v_lshlrev_b32_e32 v6, 2, v5
	v_add_u32_e32 v10, 0, v6
	v_add_u32_e32 v35, 0x600, v10
	;; [unrolled: 1-line block ×6, first 2 shown]
	s_load_dwordx2 s[2:3], s[2:3], 0x0
	s_waitcnt lgkmcnt(0)
	s_barrier
	ds_read2_b32 v[14:15], v35 offset0:84 offset1:201
	ds_read2_b32 v[16:17], v26 offset0:18 offset1:135
	;; [unrolled: 1-line block ×4, first 2 shown]
	ds_read2_b32 v[22:23], v10 offset1:117
	ds_read2_b32 v[24:25], v28 offset0:62 offset1:179
	v_add_u32_e32 v0, v10, v6
	s_waitcnt lgkmcnt(0)
	s_barrier
	v_pk_add_f16 v8, v22, v24 neg_lo:[0,1] neg_hi:[0,1]
	v_pk_fma_f16 v22, v22, 2.0, v8 op_sel_hi:[1,0,1] neg_lo:[0,0,1] neg_hi:[0,0,1]
	ds_write2_b32 v0, v22, v8 offset1:1
	v_pk_add_f16 v0, v23, v25 neg_lo:[0,1] neg_hi:[0,1]
	v_pk_fma_f16 v8, v23, 2.0, v0 op_sel_hi:[1,0,1] neg_lo:[0,0,1] neg_hi:[0,0,1]
	v_lshl_add_u32 v32, v7, 3, 0
	ds_write2_b32 v32, v8, v0 offset1:1
	v_pk_add_f16 v0, v18, v20 neg_lo:[0,1] neg_hi:[0,1]
	v_lshl_add_u32 v31, v13, 3, 0
	v_pk_fma_f16 v8, v18, 2.0, v0 op_sel_hi:[1,0,1] neg_lo:[0,0,1] neg_hi:[0,0,1]
	ds_write2_b32 v31, v8, v0 offset1:1
	v_pk_add_f16 v0, v19, v21 neg_lo:[0,1] neg_hi:[0,1]
	v_pk_fma_f16 v8, v19, 2.0, v0 op_sel_hi:[1,0,1] neg_lo:[0,0,1] neg_hi:[0,0,1]
	v_lshl_add_u32 v33, v12, 3, 0
	ds_write2_b32 v33, v8, v0 offset1:1
	v_pk_add_f16 v8, v15, v17 neg_lo:[0,1] neg_hi:[0,1]
	v_pk_add_f16 v16, v14, v16 neg_lo:[0,1] neg_hi:[0,1]
	v_lshl_add_u32 v34, v9, 3, 0
	v_pk_fma_f16 v15, v15, 2.0, v8 op_sel_hi:[1,0,1] neg_lo:[0,0,1] neg_hi:[0,0,1]
	v_pk_fma_f16 v14, v14, 2.0, v16 op_sel_hi:[1,0,1] neg_lo:[0,0,1] neg_hi:[0,0,1]
	v_and_b32_e32 v21, 1, v11
	v_and_b32_e32 v23, 1, v5
	v_lshl_add_u32 v0, v11, 3, 0
	ds_write2_b32 v34, v14, v16 offset1:1
	ds_write2_b32 v0, v15, v8 offset1:1
	v_lshlrev_b32_e32 v8, 2, v21
	v_and_b32_e32 v22, 1, v12
	v_lshlrev_b32_e32 v15, 2, v23
	v_and_b32_e32 v29, 1, v7
	s_waitcnt lgkmcnt(0)
	s_barrier
	v_lshlrev_b32_e32 v14, 2, v22
	global_load_dword v24, v15, s[12:13]
	global_load_dword v25, v8, s[12:13]
	v_lshlrev_b32_e32 v8, 2, v29
	global_load_dword v30, v14, s[12:13]
	global_load_dword v40, v8, s[12:13]
	s_movk_i32 s5, 0xfc
	v_lshlrev_b32_e32 v14, 1, v5
	v_and_or_b32 v19, v14, s5, v23
	ds_read2_b32 v[15:16], v26 offset0:18 offset1:135
	ds_read2_b32 v[17:18], v27 offset0:40 offset1:157
	v_lshl_add_u32 v26, v19, 2, 0
	ds_read2_b32 v[19:20], v28 offset0:62 offset1:179
	s_mov_b32 s4, 0xffff
	v_lshlrev_b32_e32 v8, 2, v11
	v_lshlrev_b32_e32 v37, 2, v7
	;; [unrolled: 1-line block ×4, first 2 shown]
	v_sub_u32_e32 v41, v0, v8
	v_sub_u32_e32 v42, v32, v37
	;; [unrolled: 1-line block ×3, first 2 shown]
	s_movk_i32 s5, 0x1fc
	v_and_b32_e32 v52, 3, v12
	v_add_u32_e32 v51, 0x1000, v10
	s_waitcnt vmcnt(3) lgkmcnt(2)
	v_pk_mul_f16 v28, v24, v15 op_sel:[0,1]
	s_waitcnt vmcnt(2)
	v_pk_mul_f16 v27, v25, v16 op_sel:[0,1]
	s_waitcnt lgkmcnt(0)
	v_pk_mul_f16 v47, v24, v19 op_sel:[0,1]
	s_waitcnt vmcnt(1)
	v_pk_mul_f16 v44, v30, v18 op_sel:[0,1]
	s_waitcnt vmcnt(0)
	v_pk_mul_f16 v46, v40, v20 op_sel:[0,1]
	v_pk_fma_f16 v48, v25, v16, v27 op_sel:[0,0,1] op_sel_hi:[1,1,0] neg_lo:[0,0,1] neg_hi:[0,0,1]
	v_pk_fma_f16 v25, v25, v16, v27 op_sel:[0,0,1] op_sel_hi:[1,0,0]
	v_pk_fma_f16 v27, v24, v15, v28 op_sel:[0,0,1] op_sel_hi:[1,1,0] neg_lo:[0,0,1] neg_hi:[0,0,1]
	v_pk_fma_f16 v15, v24, v15, v28 op_sel:[0,0,1] op_sel_hi:[1,0,0]
	;; [unrolled: 2-line block ×5, first 2 shown]
	v_pk_mul_f16 v45, v24, v17 op_sel:[0,1]
	v_bfi_b32 v19, s4, v40, v19
	v_lshlrev_b32_e32 v40, 2, v9
	v_pk_fma_f16 v30, v24, v17, v45 op_sel:[0,0,1] op_sel_hi:[1,1,0] neg_lo:[0,0,1] neg_hi:[0,0,1]
	v_pk_fma_f16 v17, v24, v17, v45 op_sel:[0,0,1] op_sel_hi:[1,0,0]
	v_sub_u32_e32 v44, v33, v39
	v_sub_u32_e32 v45, v34, v40
	ds_read_b32 v24, v10
	ds_read_b32 v46, v42
	ds_read_b32 v47, v43
	ds_read_b32 v49, v44
	ds_read_b32 v41, v41
	ds_read_b32 v50, v45
	s_waitcnt lgkmcnt(5)
	v_pk_add_f16 v19, v24, v19 neg_lo:[0,1] neg_hi:[0,1]
	v_pk_fma_f16 v24, v24, 2.0, v19 op_sel_hi:[1,0,1] neg_lo:[0,0,1] neg_hi:[0,0,1]
	s_waitcnt lgkmcnt(0)
	s_barrier
	ds_write2_b32 v26, v24, v19 offset1:2
	v_bfi_b32 v19, s4, v18, v20
	v_lshlrev_b32_e32 v18, 1, v7
	v_and_or_b32 v20, v18, s5, v29
	v_pk_add_f16 v19, v46, v19 neg_lo:[0,1] neg_hi:[0,1]
	v_lshl_add_u32 v20, v20, 2, 0
	v_pk_fma_f16 v24, v46, 2.0, v19 op_sel_hi:[1,0,1] neg_lo:[0,0,1] neg_hi:[0,0,1]
	ds_write2_b32 v20, v24, v19 offset1:2
	v_bfi_b32 v19, s4, v30, v17
	s_movk_i32 s5, 0x3fc
	v_lshlrev_b32_e32 v17, 1, v13
	v_and_or_b32 v20, v17, s5, v23
	v_pk_add_f16 v19, v47, v19 neg_lo:[0,1] neg_hi:[0,1]
	v_lshl_add_u32 v20, v20, 2, 0
	v_pk_fma_f16 v24, v47, 2.0, v19 op_sel_hi:[1,0,1] neg_lo:[0,0,1] neg_hi:[0,0,1]
	ds_write2_b32 v20, v24, v19 offset1:2
	v_bfi_b32 v19, s4, v16, v28
	v_lshlrev_b32_e32 v16, 1, v12
	v_and_or_b32 v20, v16, s5, v22
	v_pk_add_f16 v19, v49, v19 neg_lo:[0,1] neg_hi:[0,1]
	v_lshl_add_u32 v20, v20, 2, 0
	v_pk_fma_f16 v22, v49, 2.0, v19 op_sel_hi:[1,0,1] neg_lo:[0,0,1] neg_hi:[0,0,1]
	ds_write2_b32 v20, v22, v19 offset1:2
	s_movk_i32 s5, 0x7fc
	v_lshlrev_b32_e32 v19, 1, v9
	v_bfi_b32 v15, s4, v27, v15
	v_and_or_b32 v19, v19, s5, v23
	v_pk_add_f16 v15, v50, v15 neg_lo:[0,1] neg_hi:[0,1]
	v_lshl_add_u32 v19, v19, 2, 0
	v_pk_fma_f16 v20, v50, 2.0, v15 op_sel_hi:[1,0,1] neg_lo:[0,0,1] neg_hi:[0,0,1]
	ds_write2_b32 v19, v20, v15 offset1:2
	s_movk_i32 s5, 0x5fc
	v_lshlrev_b32_e32 v15, 1, v11
	v_bfi_b32 v19, s4, v48, v25
	v_and_or_b32 v15, v15, s5, v21
	v_pk_add_f16 v19, v41, v19 neg_lo:[0,1] neg_hi:[0,1]
	v_lshl_add_u32 v15, v15, 2, 0
	v_pk_fma_f16 v20, v41, 2.0, v19 op_sel_hi:[1,0,1] neg_lo:[0,0,1] neg_hi:[0,0,1]
	v_and_b32_e32 v46, 3, v7
	ds_write2_b32 v15, v20, v19 offset1:2
	v_lshlrev_b32_e32 v15, 3, v46
	v_and_b32_e32 v47, 3, v13
	s_waitcnt lgkmcnt(0)
	s_barrier
	global_load_dwordx2 v[19:20], v15, s[12:13] offset:8
	v_lshlrev_b32_e32 v15, 3, v47
	global_load_dwordx2 v[21:22], v15, s[12:13] offset:8
	v_lshlrev_b32_e32 v15, 3, v52
	v_and_b32_e32 v41, 3, v5
	global_load_dwordx2 v[23:24], v15, s[12:13] offset:8
	v_lshlrev_b32_e32 v15, 3, v41
	global_load_dwordx2 v[25:26], v15, s[12:13] offset:8
	v_add_u32_e32 v49, 0x800, v10
	ds_read2_b32 v[27:28], v49 offset0:73 offset1:190
	ds_read2_b32 v[29:30], v51 offset0:29 offset1:146
	s_movk_i32 s4, 0x3aee
	s_mov_b32 s5, 0xbaee
	s_waitcnt lgkmcnt(1)
	v_lshrrev_b32_e32 v15, 16, v27
	v_lshrrev_b32_e32 v50, 16, v28
	s_waitcnt lgkmcnt(0)
	v_lshrrev_b32_e32 v48, 16, v29
	s_waitcnt vmcnt(3)
	v_mul_f16_sdwa v53, v19, v27 dst_sel:DWORD dst_unused:UNUSED_PAD src0_sel:WORD_1 src1_sel:DWORD
	v_mul_f16_sdwa v54, v19, v15 dst_sel:DWORD dst_unused:UNUSED_PAD src0_sel:WORD_1 src1_sel:DWORD
	v_fma_f16 v53, v19, v15, v53
	s_waitcnt vmcnt(2)
	v_mul_f16_sdwa v15, v21, v50 dst_sel:DWORD dst_unused:UNUSED_PAD src0_sel:WORD_1 src1_sel:DWORD
	v_fma_f16 v27, v19, v27, -v54
	v_fma_f16 v54, v21, v28, -v15
	v_mul_f16_sdwa v15, v21, v28 dst_sel:DWORD dst_unused:UNUSED_PAD src0_sel:WORD_1 src1_sel:DWORD
	v_fma_f16 v28, v21, v50, v15
	v_lshrrev_b32_e32 v15, 16, v30
	ds_read_b32 v21, v45
	v_mul_f16_sdwa v55, v20, v29 dst_sel:DWORD dst_unused:UNUSED_PAD src0_sel:WORD_1 src1_sel:DWORD
	v_mul_f16_sdwa v19, v15, v22 dst_sel:DWORD dst_unused:UNUSED_PAD src0_sel:DWORD src1_sel:WORD_1
	v_mul_f16_sdwa v56, v20, v48 dst_sel:DWORD dst_unused:UNUSED_PAD src0_sel:WORD_1 src1_sel:DWORD
	v_fma_f16 v48, v20, v48, v55
	v_fma_f16 v50, v30, v22, -v19
	v_mul_f16_sdwa v19, v30, v22 dst_sel:DWORD dst_unused:UNUSED_PAD src0_sel:DWORD src1_sel:WORD_1
	v_add_u32_e32 v55, 0xc00, v10
	v_fma_f16 v29, v20, v29, -v56
	ds_read_b32 v56, v44
	v_fma_f16 v30, v15, v22, v19
	ds_read2_b32 v[19:20], v55 offset0:51 offset1:168
	s_waitcnt lgkmcnt(2)
	v_lshrrev_b32_e32 v15, 16, v21
	s_waitcnt vmcnt(0)
	v_mul_f16_sdwa v22, v25, v15 dst_sel:DWORD dst_unused:UNUSED_PAD src0_sel:WORD_1 src1_sel:DWORD
	v_fma_f16 v44, v25, v21, -v22
	v_mul_f16_sdwa v21, v25, v21 dst_sel:DWORD dst_unused:UNUSED_PAD src0_sel:WORD_1 src1_sel:DWORD
	v_fma_f16 v25, v25, v15, v21
	s_waitcnt lgkmcnt(0)
	v_lshrrev_b32_e32 v15, 16, v20
	v_mul_f16_sdwa v21, v26, v20 dst_sel:DWORD dst_unused:UNUSED_PAD src0_sel:WORD_1 src1_sel:DWORD
	v_fma_f16 v45, v26, v15, v21
	v_mul_f16_sdwa v15, v26, v15 dst_sel:DWORD dst_unused:UNUSED_PAD src0_sel:WORD_1 src1_sel:DWORD
	v_fma_f16 v20, v26, v20, -v15
	v_lshrrev_b32_e32 v15, 16, v19
	v_mul_f16_sdwa v21, v15, v23 dst_sel:DWORD dst_unused:UNUSED_PAD src0_sel:DWORD src1_sel:WORD_1
	v_fma_f16 v57, v19, v23, -v21
	ds_read_b32 v21, v10 offset:5148
	v_mul_f16_sdwa v19, v19, v23 dst_sel:DWORD dst_unused:UNUSED_PAD src0_sel:DWORD src1_sel:WORD_1
	v_fma_f16 v58, v15, v23, v19
	ds_read_b32 v59, v43
	ds_read_b32 v43, v42
	;; [unrolled: 1-line block ×3, first 2 shown]
	v_sub_f16_e32 v62, v25, v45
	s_waitcnt lgkmcnt(3)
	v_lshrrev_b32_e32 v15, 16, v21
	v_mul_f16_sdwa v22, v15, v24 dst_sel:DWORD dst_unused:UNUSED_PAD src0_sel:DWORD src1_sel:WORD_1
	v_fma_f16 v60, v21, v24, -v22
	v_mul_f16_sdwa v21, v21, v24 dst_sel:DWORD dst_unused:UNUSED_PAD src0_sel:DWORD src1_sel:WORD_1
	v_fma_f16 v61, v15, v24, v21
	v_add_f16_e32 v15, v27, v29
	s_waitcnt lgkmcnt(1)
	v_fma_f16 v15, v15, -0.5, v43
	v_sub_f16_e32 v22, v53, v48
	v_fma_f16 v21, v22, s4, v15
	v_fma_f16 v22, v22, s5, v15
	v_add_f16_e32 v15, v57, v60
	v_fma_f16 v15, v15, -0.5, v56
	v_sub_f16_e32 v24, v58, v61
	s_waitcnt lgkmcnt(0)
	v_lshrrev_b32_e32 v26, 16, v19
	v_fma_f16 v23, v24, s4, v15
	v_fma_f16 v24, v24, s5, v15
	v_add_f16_e32 v15, v26, v25
	v_add_f16_e32 v25, v25, v45
	v_fma_f16 v25, v25, -0.5, v26
	v_lshrrev_b32_e32 v26, 2, v5
	v_mul_u32_u24_e32 v26, 12, v26
	v_or_b32_e32 v26, v26, v41
	v_add_f16_e32 v41, v44, v20
	v_add_f16_e32 v15, v15, v45
	v_fma_f16 v45, v41, -0.5, v19
	v_add_f16_e32 v19, v19, v44
	v_sub_f16_e32 v42, v44, v20
	v_add_f16_e32 v19, v19, v20
	v_fma_f16 v20, v62, s4, v45
	v_fma_f16 v41, v42, s5, v25
	v_lshl_add_u32 v26, v26, 2, 0
	v_pack_b32_f16 v44, v19, v15
	v_pack_b32_f16 v63, v20, v41
	v_fma_f16 v42, v42, s4, v25
	v_fma_f16 v25, v62, s5, v45
	s_barrier
	ds_write2_b32 v26, v44, v63 offset1:4
	v_pack_b32_f16 v44, v25, v42
	v_lshrrev_b32_e32 v45, 2, v7
	ds_write_b32 v26, v44 offset:32
	v_lshrrev_b32_e32 v44, 16, v43
	v_mul_lo_u32 v45, v45, 12
	v_add_f16_e32 v26, v43, v27
	v_add_f16_e32 v43, v44, v53
	;; [unrolled: 1-line block ×4, first 2 shown]
	v_fma_f16 v48, v48, -0.5, v44
	v_sub_f16_e32 v27, v27, v29
	v_add_f16_e32 v26, v26, v29
	v_or_b32_e32 v29, v45, v46
	v_fma_f16 v44, v27, s5, v48
	v_lshl_add_u32 v29, v29, 2, 0
	v_pack_b32_f16 v45, v26, v43
	v_pack_b32_f16 v46, v21, v44
	ds_write2_b32 v29, v45, v46 offset1:4
	v_fma_f16 v45, v27, s4, v48
	v_pack_b32_f16 v27, v22, v45
	ds_write_b32 v29, v27 offset:32
	v_lshrrev_b32_e32 v27, 16, v59
	v_add_f16_e32 v29, v27, v28
	v_add_f16_e32 v46, v29, v30
	v_lshrrev_b32_e32 v29, 2, v13
	v_mul_lo_u32 v29, v29, 12
	v_sub_f16_e32 v48, v28, v30
	v_add_f16_e32 v28, v28, v30
	v_fma_f16 v30, v28, -0.5, v27
	v_add_f16_e32 v27, v54, v50
	v_or_b32_e32 v29, v29, v47
	v_fma_f16 v53, v27, -0.5, v59
	v_add_f16_e32 v27, v59, v54
	v_sub_f16_e32 v47, v54, v50
	v_add_f16_e32 v27, v27, v50
	v_fma_f16 v28, v48, s4, v53
	v_fma_f16 v50, v47, s5, v30
	v_lshl_add_u32 v54, v29, 2, 0
	v_pack_b32_f16 v29, v27, v46
	v_pack_b32_f16 v59, v28, v50
	ds_write2_b32 v54, v29, v59 offset1:4
	v_fma_f16 v47, v47, s4, v30
	v_fma_f16 v29, v48, s5, v53
	v_pack_b32_f16 v30, v29, v47
	ds_write_b32 v54, v30 offset:32
	v_lshrrev_b32_e32 v54, 2, v12
	v_mul_lo_u32 v54, v54, 12
	v_add_f16_e32 v30, v56, v57
	v_lshrrev_b32_e32 v53, 16, v56
	v_add_f16_e32 v56, v58, v61
	v_add_f16_e32 v48, v53, v58
	v_fma_f16 v53, v56, -0.5, v53
	v_sub_f16_e32 v56, v57, v60
	v_or_b32_e32 v52, v54, v52
	v_add_f16_e32 v30, v30, v60
	v_add_f16_e32 v48, v48, v61
	v_lshl_add_u32 v54, v52, 2, 0
	v_fma_f16 v52, v56, s5, v53
	v_fma_f16 v53, v56, s4, v53
	s_movk_i32 s4, 0x6c
	v_pack_b32_f16 v57, v30, v48
	v_pack_b32_f16 v58, v23, v52
	;; [unrolled: 1-line block ×3, first 2 shown]
	v_cmp_gt_u32_e32 vcc, s4, v5
	ds_write2_b32 v54, v57, v58 offset1:4
	ds_write_b32 v54, v56 offset:32
	s_waitcnt lgkmcnt(0)
	s_barrier
	s_waitcnt lgkmcnt(0)
                                        ; implicit-def: $vgpr56
                                        ; implicit-def: $vgpr54
	s_and_saveexec_b64 s[4:5], vcc
	s_cbranch_execz .LBB0_15
; %bb.14:
	ds_read2_b32 v[19:20], v10 offset1:108
	ds_read2_b32 v[25:26], v36 offset0:88 offset1:196
	ds_read2_b32 v[21:22], v35 offset0:48 offset1:156
	;; [unrolled: 1-line block ×5, first 2 shown]
	ds_read_b32 v54, v10 offset:5184
	s_waitcnt lgkmcnt(6)
	v_lshrrev_b32_e32 v15, 16, v19
	v_lshrrev_b32_e32 v41, 16, v20
	s_waitcnt lgkmcnt(3)
	v_lshrrev_b32_e32 v47, 16, v29
	v_lshrrev_b32_e32 v48, 16, v30
	;; [unrolled: 3-line block ×4, first 2 shown]
	v_lshrrev_b32_e32 v43, 16, v26
	v_lshrrev_b32_e32 v44, 16, v21
	;; [unrolled: 1-line block ×5, first 2 shown]
.LBB0_15:
	s_or_b64 exec, exec, s[4:5]
	v_sub_u32_e32 v37, 0, v37
	v_sub_u32_e32 v35, 0, v38
	;; [unrolled: 1-line block ×4, first 2 shown]
	s_barrier
	s_and_saveexec_b64 s[4:5], vcc
	s_cbranch_execz .LBB0_17
; %bb.16:
	s_movk_i32 s6, 0xab
	v_mul_lo_u16_sdwa v39, v5, s6 dst_sel:DWORD dst_unused:UNUSED_PAD src0_sel:BYTE_0 src1_sel:DWORD
	v_lshrrev_b16_e32 v39, 11, v39
	v_mul_lo_u16_e32 v40, 12, v39
	v_sub_u16_e32 v40, v5, v40
	v_mov_b32_e32 v49, 12
	v_mul_u32_u24_sdwa v49, v40, v49 dst_sel:DWORD dst_unused:UNUSED_PAD src0_sel:BYTE_0 src1_sel:DWORD
	v_lshlrev_b32_e32 v49, 2, v49
	global_load_dwordx4 v[57:60], v49, s[12:13] offset:72
	global_load_dwordx4 v[61:64], v49, s[12:13] offset:40
	;; [unrolled: 1-line block ×3, first 2 shown]
	s_movk_i32 s14, 0x3a95
	s_movk_i32 s9, 0x3b7b
	;; [unrolled: 1-line block ×3, first 2 shown]
	s_mov_b32 s15, 0xb94e
	s_mov_b32 s18, 0xbbf1
	;; [unrolled: 1-line block ×3, first 2 shown]
	s_movk_i32 s6, 0x388b
	s_mov_b32 s7, 0xb5ac
	s_mov_b32 s8, 0xbbc4
	;; [unrolled: 1-line block ×3, first 2 shown]
	s_movk_i32 s19, 0x2fb7
	s_movk_i32 s20, 0x3b15
	;; [unrolled: 1-line block ×3, first 2 shown]
	s_mov_b32 s23, 0xbb7b
	s_movk_i32 s24, 0x394e
	s_mov_b32 s25, 0xb3a8
	s_mov_b32 s26, 0xba95
	s_waitcnt vmcnt(2)
	v_mul_f16_sdwa v49, v54, v60 dst_sel:DWORD dst_unused:UNUSED_PAD src0_sel:DWORD src1_sel:WORD_1
	s_waitcnt vmcnt(1)
	v_mul_f16_sdwa v51, v20, v61 dst_sel:DWORD dst_unused:UNUSED_PAD src0_sel:DWORD src1_sel:WORD_1
	v_mul_f16_sdwa v55, v41, v61 dst_sel:DWORD dst_unused:UNUSED_PAD src0_sel:DWORD src1_sel:WORD_1
	;; [unrolled: 1-line block ×5, first 2 shown]
	v_fma_f16 v49, v56, v60, v49
	v_fma_f16 v41, v41, v61, v51
	v_mul_f16_sdwa v72, v42, v62 dst_sel:DWORD dst_unused:UNUSED_PAD src0_sel:DWORD src1_sel:WORD_1
	v_mul_f16_sdwa v73, v53, v59 dst_sel:DWORD dst_unused:UNUSED_PAD src0_sel:DWORD src1_sel:WORD_1
	;; [unrolled: 1-line block ×4, first 2 shown]
	s_waitcnt vmcnt(0)
	v_mul_f16_sdwa v87, v27, v66 dst_sel:DWORD dst_unused:UNUSED_PAD src0_sel:DWORD src1_sel:WORD_1
	v_mul_f16_sdwa v88, v46, v66 dst_sel:DWORD dst_unused:UNUSED_PAD src0_sel:DWORD src1_sel:WORD_1
	v_fma_f16 v51, v54, v60, -v69
	v_fma_f16 v53, v53, v59, v70
	v_fma_f16 v42, v42, v62, v71
	v_fma_f16 v20, v20, v61, -v55
	v_add_f16_e32 v54, v41, v49
	v_mul_f16_sdwa v76, v43, v63 dst_sel:DWORD dst_unused:UNUSED_PAD src0_sel:DWORD src1_sel:WORD_1
	v_mul_f16_sdwa v77, v52, v58 dst_sel:DWORD dst_unused:UNUSED_PAD src0_sel:DWORD src1_sel:WORD_1
	;; [unrolled: 1-line block ×7, first 2 shown]
	v_fma_f16 v52, v52, v58, v74
	v_fma_f16 v25, v25, v62, -v72
	v_fma_f16 v24, v24, v59, -v73
	v_fma_f16 v43, v43, v63, v75
	v_fma_f16 v46, v46, v66, v87
	v_fma_f16 v27, v27, v66, -v88
	v_sub_f16_e32 v55, v20, v51
	v_add_f16_e32 v56, v42, v53
	v_mul_f16_e32 v66, 0x388b, v54
	v_mul_f16_sdwa v80, v44, v64 dst_sel:DWORD dst_unused:UNUSED_PAD src0_sel:DWORD src1_sel:WORD_1
	v_mul_f16_sdwa v82, v29, v68 dst_sel:DWORD dst_unused:UNUSED_PAD src0_sel:DWORD src1_sel:WORD_1
	;; [unrolled: 1-line block ×4, first 2 shown]
	v_fma_f16 v26, v26, v63, -v76
	v_fma_f16 v23, v23, v58, -v77
	v_fma_f16 v48, v48, v57, v78
	v_fma_f16 v44, v44, v64, v79
	v_fma_f16 v30, v30, v57, -v81
	v_fma_f16 v50, v50, v67, v86
	v_fma_f16 v28, v28, v67, -v89
	v_sub_f16_e32 v57, v25, v24
	v_add_f16_e32 v58, v43, v52
	v_mul_f16_e32 v67, 0xb5ac, v56
	v_fma_f16 v72, v55, s14, v66
	v_mul_f16_sdwa v84, v45, v65 dst_sel:DWORD dst_unused:UNUSED_PAD src0_sel:DWORD src1_sel:WORD_1
	v_fma_f16 v21, v21, v64, -v80
	v_fma_f16 v47, v47, v68, v82
	v_fma_f16 v45, v45, v65, v83
	v_fma_f16 v29, v29, v68, -v85
	v_sub_f16_e32 v59, v26, v23
	v_add_f16_e32 v60, v44, v48
	v_mul_f16_e32 v68, 0xbbc4, v58
	v_fma_f16 v73, v57, s9, v67
	v_add_f16_e32 v72, v15, v72
	v_fma_f16 v22, v22, v65, -v84
	v_sub_f16_e32 v61, v21, v30
	v_add_f16_e32 v62, v45, v47
	v_mul_f16_e32 v69, 0xb9fd, v60
	v_fma_f16 v74, v59, s16, v68
	v_add_f16_e32 v72, v73, v72
	v_sub_f16_e32 v63, v22, v29
	v_add_f16_e32 v64, v46, v50
	v_mul_f16_e32 v70, 0x2fb7, v62
	v_fma_f16 v75, v61, s15, v69
	v_add_f16_e32 v72, v74, v72
	v_sub_f16_e32 v65, v27, v28
	v_mul_f16_e32 v71, 0x3b15, v64
	v_fma_f16 v76, v63, s18, v70
	v_add_f16_e32 v72, v75, v72
	v_sub_f16_e32 v74, v41, v49
	v_fma_f16 v77, v65, s22, v71
	v_add_f16_e32 v72, v76, v72
	v_add_f16_e32 v73, v20, v51
	v_mul_f16_e32 v75, 0xba95, v74
	v_sub_f16_e32 v78, v42, v53
	v_add_f16_e32 v72, v77, v72
	v_fma_f16 v76, v73, s6, v75
	v_add_f16_e32 v77, v25, v24
	v_mul_f16_e32 v79, 0xbb7b, v78
	v_add_f16_e32 v76, v19, v76
	v_fma_f16 v80, v77, s7, v79
	v_sub_f16_e32 v81, v43, v52
	v_add_f16_e32 v76, v80, v76
	v_add_f16_e32 v80, v26, v23
	v_mul_f16_e32 v82, 0xb3a8, v81
	v_fma_f16 v83, v80, s8, v82
	v_sub_f16_e32 v84, v44, v48
	v_add_f16_e32 v76, v83, v76
	v_add_f16_e32 v83, v21, v30
	v_mul_f16_e32 v85, 0x394e, v84
	v_fma_f16 v86, v83, s17, v85
	v_sub_f16_e32 v87, v45, v47
	v_add_f16_e32 v76, v86, v76
	v_add_f16_e32 v86, v22, v29
	v_mul_f16_e32 v88, 0x3bf1, v87
	v_fma_f16 v89, v86, s19, v88
	v_sub_f16_e32 v90, v46, v50
	v_add_f16_e32 v76, v89, v76
	v_add_f16_e32 v89, v27, v28
	v_mul_f16_e32 v91, 0x3770, v90
	v_fma_f16 v92, v89, s20, v91
	v_add_f16_e32 v76, v92, v76
	v_mul_f16_e32 v92, 0x2fb7, v54
	v_fma_f16 v93, v55, s21, v92
	v_mul_f16_e32 v94, 0xbbc4, v56
	v_add_f16_e32 v93, v15, v93
	v_fma_f16 v95, v57, s16, v94
	v_add_f16_e32 v93, v95, v93
	v_mul_f16_e32 v95, 0xb5ac, v58
	v_fma_f16 v96, v59, s23, v95
	v_add_f16_e32 v93, v96, v93
	v_mul_f16_e32 v96, 0x3b15, v60
	v_fma_f16 v97, v61, s22, v96
	v_add_f16_e32 v93, v97, v93
	v_mul_f16_e32 v97, 0x388b, v62
	v_fma_f16 v98, v63, s14, v97
	v_add_f16_e32 v93, v98, v93
	v_mul_f16_e32 v98, 0xb9fd, v64
	v_fma_f16 v99, v65, s24, v98
	v_add_f16_e32 v93, v99, v93
	v_mul_f16_e32 v99, 0xbbf1, v74
	v_fma_f16 v100, v73, s19, v99
	v_mul_f16_e32 v101, 0xb3a8, v78
	v_add_f16_e32 v100, v19, v100
	v_fma_f16 v102, v77, s8, v101
	v_add_f16_e32 v100, v102, v100
	v_mul_f16_e32 v102, 0x3b7b, v81
	v_fma_f16 v103, v80, s7, v102
	v_add_f16_e32 v100, v103, v100
	v_mul_f16_e32 v103, 0x3770, v84
	v_fma_f16 v104, v83, s20, v103
	v_add_f16_e32 v100, v104, v100
	v_mul_f16_e32 v104, 0xba95, v87
	v_fma_f16 v105, v86, s6, v104
	v_add_f16_e32 v100, v105, v100
	v_mul_f16_e32 v105, 0xb94e, v90
	;; [unrolled: 18-line block ×5, first 2 shown]
	v_fma_f16 v127, v65, s9, v126
	v_add_f16_e32 v121, v127, v121
	v_mul_f16_e32 v127, 0xb94e, v74
	v_fma_f16 v128, v73, s17, v127
	v_mul_f16_e32 v129, 0x3bf1, v78
	v_add_f16_e32 v128, v19, v128
	v_fma_f16 v130, v77, s19, v129
	v_add_f16_e32 v128, v130, v128
	v_mul_f16_e32 v130, 0xba95, v81
	v_fma_f16 v131, v80, s6, v130
	v_add_f16_e32 v128, v131, v128
	v_mul_f16_e32 v131, 0x33a8, v84
	v_fma_f16 v66, v55, s26, v66
	v_fma_f16 v132, v83, s8, v131
	v_add_f16_e32 v66, v15, v66
	v_fma_f16 v67, v57, s23, v67
	v_add_f16_e32 v128, v132, v128
	v_mul_f16_e32 v132, 0x3770, v87
	v_add_f16_e32 v66, v67, v66
	v_fma_f16 v67, v59, s25, v68
	v_fma_f16 v133, v86, s20, v132
	v_mul_f16_e32 v136, 0x3b15, v56
	v_add_f16_e32 v66, v67, v66
	v_fma_f16 v67, v61, s24, v69
	v_add_f16_e32 v128, v133, v128
	v_mul_f16_e32 v133, 0xbb7b, v90
	v_fma_f16 v137, v57, s22, v136
	s_movk_i32 s22, 0x3770
	v_add_f16_e32 v66, v67, v66
	v_fma_f16 v67, v63, s21, v70
	v_fma_f16 v134, v89, s7, v133
	v_add_f16_e32 v66, v67, v66
	v_fma_f16 v67, v65, s22, v71
	v_add_f16_e32 v128, v134, v128
	v_mul_f16_e32 v134, 0xbbc4, v54
	v_add_f16_e32 v66, v67, v66
	v_fma_f16 v67, v73, s6, -v75
	v_fma_f16 v135, v55, s16, v134
	v_add_f16_e32 v67, v19, v67
	v_fma_f16 v68, v77, s7, -v79
	v_add_f16_e32 v135, v15, v135
	v_add_f16_e32 v67, v68, v67
	v_fma_f16 v68, v80, s8, -v82
	v_add_f16_e32 v135, v137, v135
	v_mul_f16_e32 v137, 0xb9fd, v58
	v_add_f16_e32 v67, v68, v67
	v_fma_f16 v68, v83, s17, -v85
	v_fma_f16 v138, v59, s24, v137
	v_add_f16_e32 v67, v68, v67
	v_fma_f16 v68, v86, s19, -v88
	v_add_f16_e32 v135, v138, v135
	v_mul_f16_e32 v138, 0x388b, v60
	v_fma_f16 v134, v55, s25, v134
	v_fma_f16 v120, v55, s15, v120
	;; [unrolled: 1-line block ×4, first 2 shown]
	v_add_f16_e32 v67, v68, v67
	v_fma_f16 v68, v89, s20, -v91
	v_mul_f16_e32 v55, 0xb770, v55
	v_fma_f16 v139, v61, s26, v138
	v_add_f16_e32 v134, v15, v134
	v_fma_f16 v136, v57, s22, v136
	v_add_f16_e32 v120, v15, v120
	v_fma_f16 v122, v57, s21, v122
	v_add_f16_e32 v106, v15, v106
	v_fma_f16 v108, v57, s24, v108
	v_add_f16_e32 v92, v15, v92
	v_fma_f16 v94, v57, s25, v94
	v_add_f16_e32 v67, v68, v67
	v_fma_f16 v68, v54, s20, v55
	v_mul_f16_e32 v57, 0xba95, v57
	v_add_f16_e32 v135, v139, v135
	v_mul_f16_e32 v139, 0xb5ac, v62
	v_add_f16_e32 v134, v136, v134
	v_fma_f16 v136, v59, s15, v137
	v_add_f16_e32 v120, v122, v120
	v_fma_f16 v122, v59, s26, v123
	v_add_f16_e32 v106, v108, v106
	v_fma_f16 v108, v59, s22, v109
	v_add_f16_e32 v92, v94, v92
	v_fma_f16 v94, v59, s9, v95
	v_add_f16_e32 v68, v15, v68
	v_fma_f16 v69, v56, s6, v57
	v_mul_f16_e32 v59, 0xbbf1, v59
	v_add_f16_e32 v20, v19, v20
	v_fma_f16 v140, v63, s9, v139
	v_add_f16_e32 v134, v136, v134
	v_fma_f16 v136, v61, s14, v138
	;; [unrolled: 2-line block ×6, first 2 shown]
	v_mul_f16_e32 v61, 0xbb7b, v61
	v_add_f16_e32 v20, v20, v25
	v_add_f16_e32 v135, v140, v135
	v_mul_f16_e32 v140, 0x2fb7, v64
	v_add_f16_e32 v134, v136, v134
	v_fma_f16 v136, v63, s23, v139
	v_add_f16_e32 v120, v122, v120
	v_fma_f16 v122, v63, s22, v125
	;; [unrolled: 2-line block ×5, first 2 shown]
	v_mul_f16_e32 v63, 0xb94e, v63
	v_add_f16_e32 v20, v20, v26
	v_fma_f16 v141, v65, s18, v140
	v_add_f16_e32 v134, v136, v134
	v_fma_f16 v136, v65, s21, v140
	v_add_f16_e32 v120, v122, v120
	v_fma_f16 v122, v65, s23, v126
	v_add_f16_e32 v106, v108, v106
	v_fma_f16 v108, v65, s14, v112
	v_add_f16_e32 v92, v94, v92
	v_fma_f16 v94, v65, s15, v98
	v_add_f16_e32 v68, v69, v68
	v_fma_f16 v69, v62, s17, v63
	v_mul_f16_e32 v65, 0xb3a8, v65
	v_add_f16_e32 v20, v20, v21
	v_add_f16_e32 v68, v69, v68
	v_fma_f16 v69, v64, s8, v65
	v_add_f16_e32 v20, v20, v22
	v_fma_f16 v22, v54, s20, -v55
	v_add_f16_e32 v68, v69, v68
	v_mul_f16_e32 v69, 0xb770, v74
	v_add_f16_e32 v21, v15, v41
	v_add_f16_e32 v15, v15, v22
	v_fma_f16 v22, v56, s6, -v57
	v_fma_f16 v70, v73, s20, -v69
	v_mul_f16_e32 v71, 0xba95, v78
	v_add_f16_e32 v21, v21, v42
	v_add_f16_e32 v15, v22, v15
	v_fma_f16 v22, v58, s19, -v59
	v_add_f16_e32 v135, v141, v135
	v_mul_f16_e32 v141, 0xb3a8, v74
	v_add_f16_e32 v70, v19, v70
	v_fma_f16 v74, v77, s6, -v71
	v_add_f16_e32 v21, v21, v43
	v_add_f16_e32 v15, v22, v15
	v_fma_f16 v22, v60, s7, -v61
	v_add_f16_e32 v70, v74, v70
	v_mul_f16_e32 v74, 0xbbf1, v81
	v_add_f16_e32 v21, v21, v44
	v_add_f16_e32 v15, v22, v15
	v_fma_f16 v22, v62, s17, -v63
	v_fma_f16 v142, v73, s8, v141
	v_mul_f16_e32 v143, 0x3770, v78
	v_fma_f16 v75, v80, s19, -v74
	v_add_f16_e32 v21, v21, v45
	v_add_f16_e32 v15, v22, v15
	v_fma_f16 v22, v64, s8, -v65
	v_add_f16_e32 v142, v19, v142
	v_fma_f16 v144, v77, s20, v143
	v_add_f16_e32 v134, v136, v134
	v_fma_f16 v136, v73, s8, -v141
	v_add_f16_e32 v120, v122, v120
	v_fma_f16 v122, v73, s17, -v127
	;; [unrolled: 2-line block ×4, first 2 shown]
	v_add_f16_e32 v70, v75, v70
	v_mul_f16_e32 v75, 0xbb7b, v84
	v_add_f16_e32 v20, v20, v27
	v_add_f16_e32 v21, v21, v46
	;; [unrolled: 1-line block ×3, first 2 shown]
	v_fma_f16 v22, v73, s20, v69
	v_add_f16_e32 v142, v144, v142
	v_mul_f16_e32 v144, 0xb94e, v81
	v_add_f16_e32 v136, v19, v136
	v_add_f16_e32 v122, v19, v122
	;; [unrolled: 1-line block ×4, first 2 shown]
	v_fma_f16 v78, v83, s7, -v75
	v_add_f16_e32 v20, v20, v28
	v_add_f16_e32 v21, v21, v50
	;; [unrolled: 1-line block ×3, first 2 shown]
	v_fma_f16 v22, v77, s6, v71
	v_fma_f16 v145, v80, s17, v144
	v_fma_f16 v95, v77, s8, -v101
	v_add_f16_e32 v70, v78, v70
	v_mul_f16_e32 v78, 0xb94e, v87
	v_add_f16_e32 v20, v20, v29
	v_add_f16_e32 v21, v21, v47
	;; [unrolled: 1-line block ×3, first 2 shown]
	v_fma_f16 v22, v80, s19, v74
	v_add_f16_e32 v142, v145, v142
	v_mul_f16_e32 v145, 0x3a95, v84
	v_fma_f16 v123, v77, s19, -v129
	v_fma_f16 v109, v77, s17, -v115
	v_add_f16_e32 v94, v95, v94
	v_fma_f16 v95, v80, s7, -v102
	v_fma_f16 v79, v86, s17, -v78
	v_add_f16_e32 v20, v20, v30
	v_add_f16_e32 v21, v21, v48
	;; [unrolled: 1-line block ×3, first 2 shown]
	v_fma_f16 v22, v83, s7, v75
	v_fma_f16 v146, v83, s6, v145
	v_fma_f16 v137, v77, s20, -v143
	v_add_f16_e32 v122, v123, v122
	v_fma_f16 v123, v80, s6, -v130
	v_add_f16_e32 v108, v109, v108
	;; [unrolled: 2-line block ×4, first 2 shown]
	v_mul_f16_e32 v79, 0xb3a8, v90
	v_add_f16_e32 v20, v20, v23
	v_add_f16_e32 v21, v21, v52
	;; [unrolled: 1-line block ×3, first 2 shown]
	v_fma_f16 v22, v86, s17, v78
	v_add_f16_e32 v142, v146, v142
	v_mul_f16_e32 v146, 0xbb7b, v87
	v_add_f16_e32 v136, v137, v136
	v_fma_f16 v137, v80, s17, -v144
	v_add_f16_e32 v122, v123, v122
	v_fma_f16 v123, v83, s8, -v131
	;; [unrolled: 2-line block ×4, first 2 shown]
	v_fma_f16 v81, v89, s8, -v79
	v_add_f16_e32 v20, v20, v24
	v_add_f16_e32 v21, v21, v53
	v_add_f16_e32 v19, v22, v19
	v_fma_f16 v22, v89, s8, v79
	v_mov_b32_e32 v23, 2
	v_fma_f16 v147, v86, s7, v146
	v_add_f16_e32 v136, v137, v136
	v_fma_f16 v137, v83, s6, -v145
	v_add_f16_e32 v122, v123, v122
	v_fma_f16 v123, v86, s20, -v132
	;; [unrolled: 2-line block ×4, first 2 shown]
	v_add_f16_e32 v70, v81, v70
	v_add_f16_e32 v20, v20, v51
	v_add_f16_e32 v21, v21, v49
	v_add_f16_e32 v19, v22, v19
	v_mul_u32_u24_e32 v22, 0x270, v39
	v_lshlrev_b32_sdwa v23, v23, v40 dst_sel:DWORD dst_unused:UNUSED_PAD src0_sel:DWORD src1_sel:BYTE_0
	v_add_f16_e32 v142, v147, v142
	v_mul_f16_e32 v147, 0x3bf1, v90
	v_add_f16_e32 v136, v137, v136
	v_fma_f16 v137, v86, s7, -v146
	v_add_f16_e32 v122, v123, v122
	v_fma_f16 v123, v89, s7, -v133
	;; [unrolled: 2-line block ×3, first 2 shown]
	v_add_f16_e32 v94, v95, v94
	v_add3_u32 v22, 0, v22, v23
	v_pack_b32_f16 v20, v20, v21
	v_pack_b32_f16 v21, v70, v68
	v_fma_f16 v148, v89, s19, v147
	v_add_f16_e32 v136, v137, v136
	v_fma_f16 v137, v89, s19, -v147
	v_add_f16_e32 v122, v123, v122
	v_add_f16_e32 v108, v109, v108
	ds_write2_b32 v22, v20, v21 offset1:12
	v_pack_b32_f16 v20, v67, v66
	v_pack_b32_f16 v21, v94, v92
	v_add_f16_e32 v142, v148, v142
	v_add_f16_e32 v136, v137, v136
	ds_write2_b32 v22, v20, v21 offset0:24 offset1:36
	v_pack_b32_f16 v20, v108, v106
	v_pack_b32_f16 v21, v122, v120
	ds_write2_b32 v22, v20, v21 offset0:48 offset1:60
	v_pack_b32_f16 v20, v136, v134
	v_pack_b32_f16 v21, v142, v135
	;; [unrolled: 3-line block ×4, first 2 shown]
	v_pack_b32_f16 v15, v19, v15
	ds_write2_b32 v22, v20, v21 offset0:120 offset1:132
	ds_write_b32 v22, v15 offset:576
.LBB0_17:
	s_or_b64 exec, exec, s[4:5]
	v_mov_b32_e32 v15, 0
	v_lshlrev_b64 v[19:20], 2, v[14:15]
	v_mov_b32_e32 v43, s13
	v_add_co_u32_e32 v24, vcc, s12, v19
	v_addc_co_u32_e32 v25, vcc, v43, v20, vcc
	v_subrev_u32_e32 v14, 39, v5
	v_cmp_gt_u32_e32 vcc, 39, v5
	v_cndmask_b32_e32 v44, v14, v7, vcc
	v_lshlrev_b32_e32 v14, 1, v44
	v_lshlrev_b64 v[19:20], 2, v[14:15]
	v_lshrrev_b16_e32 v14, 2, v13
	v_mul_u32_u24_e32 v14, 0xd21, v14
	v_lshrrev_b32_e32 v14, 17, v14
	v_mul_lo_u16_e32 v21, 0x9c, v14
	v_add_co_u32_e32 v19, vcc, s12, v19
	v_sub_u16_e32 v45, v13, v21
	v_addc_co_u32_e32 v20, vcc, v43, v20, vcc
	v_lshlrev_b32_e32 v21, 3, v45
	s_waitcnt lgkmcnt(0)
	s_barrier
	global_load_dwordx2 v[26:27], v[24:25], off offset:616
	global_load_dwordx2 v[28:29], v[19:20], off offset:616
	global_load_dwordx2 v[39:40], v21, s[12:13] offset:616
	v_lshrrev_b16_e32 v19, 2, v12
	v_mul_u32_u24_e32 v19, 0xd21, v19
	v_lshrrev_b32_e32 v19, 17, v19
	v_mul_lo_u16_e32 v19, 0x9c, v19
	v_sub_u16_e32 v19, v12, v19
	v_lshlrev_b32_e32 v20, 3, v19
	global_load_dwordx2 v[41:42], v20, s[12:13] offset:616
	v_add_u32_e32 v20, v34, v38
	v_add_u32_e32 v38, 0xc00, v10
	ds_read_b32 v46, v10
	v_add_u32_e32 v23, v32, v37
	v_add_u32_e32 v37, 0x800, v10
	;; [unrolled: 1-line block ×5, first 2 shown]
	ds_read2_b32 v[30:31], v38 offset0:51 offset1:168
	ds_read2_b32 v[32:33], v37 offset0:73 offset1:190
	;; [unrolled: 1-line block ×3, first 2 shown]
	ds_read_b32 v36, v23
	ds_read_b32 v48, v22
	;; [unrolled: 1-line block ×4, first 2 shown]
	ds_read_b32 v51, v10 offset:5148
	s_waitcnt lgkmcnt(5)
	v_lshrrev_b32_e32 v55, 16, v35
	v_lshrrev_b32_e32 v57, 16, v30
	;; [unrolled: 1-line block ×3, first 2 shown]
	s_waitcnt lgkmcnt(1)
	v_lshrrev_b32_e32 v59, 16, v50
	s_waitcnt lgkmcnt(0)
	v_lshrrev_b32_e32 v58, 16, v51
	v_lshrrev_b32_e32 v61, 16, v32
	;; [unrolled: 1-line block ×4, first 2 shown]
	s_movk_i32 s4, 0x3aee
	s_mov_b32 s5, 0xbaee
	v_lshrrev_b32_e32 v63, 16, v33
	v_lshrrev_b32_e32 v53, 16, v36
	;; [unrolled: 1-line block ×4, first 2 shown]
	s_waitcnt vmcnt(0)
	s_barrier
	v_cmp_lt_u32_e32 vcc, 38, v5
	v_mul_u32_u24_e32 v14, 0x750, v14
	s_add_u32 s6, s12, 0x15e8
	s_addc_u32 s7, s13, 0
	v_mul_f16_sdwa v64, v26, v59 dst_sel:DWORD dst_unused:UNUSED_PAD src0_sel:WORD_1 src1_sel:DWORD
	v_mul_f16_sdwa v66, v27, v60 dst_sel:DWORD dst_unused:UNUSED_PAD src0_sel:WORD_1 src1_sel:DWORD
	v_mul_f16_sdwa v68, v55, v40 dst_sel:DWORD dst_unused:UNUSED_PAD src0_sel:DWORD src1_sel:WORD_1
	v_mul_f16_sdwa v69, v35, v40 dst_sel:DWORD dst_unused:UNUSED_PAD src0_sel:DWORD src1_sel:WORD_1
	v_fma_f16 v35, v35, v40, -v68
	v_fma_f16 v40, v55, v40, v69
	v_mul_f16_sdwa v65, v26, v50 dst_sel:DWORD dst_unused:UNUSED_PAD src0_sel:WORD_1 src1_sel:DWORD
	v_mul_f16_sdwa v67, v27, v31 dst_sel:DWORD dst_unused:UNUSED_PAD src0_sel:WORD_1 src1_sel:DWORD
	v_fma_f16 v50, v26, v50, -v64
	v_mul_f16_sdwa v70, v57, v41 dst_sel:DWORD dst_unused:UNUSED_PAD src0_sel:DWORD src1_sel:WORD_1
	v_fma_f16 v55, v30, v41, -v70
	v_mul_f16_sdwa v30, v30, v41 dst_sel:DWORD dst_unused:UNUSED_PAD src0_sel:DWORD src1_sel:WORD_1
	v_fma_f16 v31, v27, v31, -v66
	v_fma_f16 v30, v57, v41, v30
	v_mul_f16_sdwa v41, v58, v42 dst_sel:DWORD dst_unused:UNUSED_PAD src0_sel:DWORD src1_sel:WORD_1
	v_fma_f16 v26, v26, v59, v65
	v_fma_f16 v27, v27, v60, v67
	v_fma_f16 v41, v51, v42, -v41
	v_mul_f16_sdwa v51, v51, v42 dst_sel:DWORD dst_unused:UNUSED_PAD src0_sel:DWORD src1_sel:WORD_1
	v_add_f16_e32 v57, v50, v31
	v_mul_f16_sdwa v59, v28, v61 dst_sel:DWORD dst_unused:UNUSED_PAD src0_sel:WORD_1 src1_sel:DWORD
	v_mul_f16_sdwa v64, v29, v62 dst_sel:DWORD dst_unused:UNUSED_PAD src0_sel:WORD_1 src1_sel:DWORD
	v_fma_f16 v42, v58, v42, v51
	v_add_f16_e32 v51, v46, v50
	v_fma_f16 v46, v57, -0.5, v46
	v_sub_f16_e32 v57, v26, v27
	v_mul_f16_sdwa v60, v28, v32 dst_sel:DWORD dst_unused:UNUSED_PAD src0_sel:WORD_1 src1_sel:DWORD
	v_mul_f16_sdwa v65, v29, v34 dst_sel:DWORD dst_unused:UNUSED_PAD src0_sel:WORD_1 src1_sel:DWORD
	v_fma_f16 v32, v28, v32, -v59
	v_fma_f16 v34, v29, v34, -v64
	v_fma_f16 v58, v57, s4, v46
	v_fma_f16 v46, v57, s5, v46
	v_add_f16_e32 v57, v52, v26
	v_add_f16_e32 v26, v26, v27
	v_fma_f16 v28, v28, v61, v60
	v_fma_f16 v29, v29, v62, v65
	v_add_f16_e32 v57, v57, v27
	v_fma_f16 v26, v26, -0.5, v52
	v_sub_f16_e32 v27, v50, v31
	v_add_f16_e32 v50, v32, v34
	v_mul_f16_sdwa v66, v39, v63 dst_sel:DWORD dst_unused:UNUSED_PAD src0_sel:WORD_1 src1_sel:DWORD
	v_add_f16_e32 v51, v51, v31
	v_fma_f16 v31, v27, s5, v26
	v_fma_f16 v26, v27, s4, v26
	v_add_f16_e32 v27, v36, v32
	v_fma_f16 v36, v50, -0.5, v36
	v_sub_f16_e32 v50, v28, v29
	v_mul_f16_sdwa v67, v39, v33 dst_sel:DWORD dst_unused:UNUSED_PAD src0_sel:WORD_1 src1_sel:DWORD
	v_fma_f16 v33, v39, v33, -v66
	v_fma_f16 v52, v50, s4, v36
	v_fma_f16 v36, v50, s5, v36
	v_add_f16_e32 v50, v53, v28
	v_add_f16_e32 v28, v28, v29
	v_fma_f16 v39, v39, v63, v67
	v_add_f16_e32 v27, v27, v34
	v_add_f16_e32 v50, v50, v29
	v_fma_f16 v28, v28, -0.5, v53
	v_sub_f16_e32 v29, v32, v34
	v_add_f16_e32 v34, v33, v35
	v_fma_f16 v32, v29, s5, v28
	v_fma_f16 v28, v29, s4, v28
	v_add_f16_e32 v29, v48, v33
	v_fma_f16 v34, v34, -0.5, v48
	v_sub_f16_e32 v48, v39, v40
	v_fma_f16 v53, v48, s4, v34
	v_fma_f16 v34, v48, s5, v34
	v_add_f16_e32 v48, v54, v39
	v_add_f16_e32 v39, v39, v40
	v_add_f16_e32 v48, v48, v40
	v_fma_f16 v39, v39, -0.5, v54
	v_sub_f16_e32 v33, v33, v35
	v_add_f16_e32 v40, v55, v41
	v_add_f16_e32 v29, v29, v35
	v_fma_f16 v35, v33, s5, v39
	v_fma_f16 v33, v33, s4, v39
	v_add_f16_e32 v39, v49, v55
	v_fma_f16 v40, v40, -0.5, v49
	v_sub_f16_e32 v49, v30, v42
	v_fma_f16 v54, v49, s4, v40
	v_fma_f16 v40, v49, s5, v40
	v_add_f16_e32 v49, v56, v30
	v_add_f16_e32 v30, v30, v42
	v_add_f16_e32 v39, v39, v41
	v_fma_f16 v30, v30, -0.5, v56
	v_sub_f16_e32 v41, v55, v41
	v_pack_b32_f16 v26, v46, v26
	v_add_f16_e32 v49, v49, v42
	v_fma_f16 v42, v41, s5, v30
	v_fma_f16 v30, v41, s4, v30
	v_pack_b32_f16 v41, v51, v57
	v_pack_b32_f16 v31, v58, v31
	ds_write_b32 v10, v26 offset:1248
	v_mov_b32_e32 v26, 0x750
	ds_write2_b32 v10, v41, v31 offset1:156
	v_cndmask_b32_e32 v26, 0, v26, vcc
	v_lshlrev_b32_e32 v31, 2, v44
	v_add3_u32 v26, 0, v26, v31
	v_pack_b32_f16 v27, v27, v50
	v_pack_b32_f16 v31, v52, v32
	ds_write2_b32 v26, v27, v31 offset1:156
	v_pack_b32_f16 v27, v36, v28
	ds_write_b32 v26, v27 offset:1248
	v_lshlrev_b32_e32 v26, 2, v45
	v_add3_u32 v14, 0, v14, v26
	v_pack_b32_f16 v26, v29, v48
	v_pack_b32_f16 v27, v53, v35
	ds_write2_b32 v14, v26, v27 offset1:156
	v_pack_b32_f16 v26, v34, v33
	ds_write_b32 v14, v26 offset:1248
	v_lshl_add_u32 v14, v19, 2, 0
	v_pack_b32_f16 v19, v39, v49
	v_pack_b32_f16 v26, v54, v42
	v_add_u32_e32 v27, 0xe00, v14
	ds_write2_b32 v27, v19, v26 offset0:40 offset1:196
	v_pack_b32_f16 v19, v40, v30
	ds_write_b32 v14, v19 offset:4992
	s_waitcnt lgkmcnt(0)
	s_barrier
	global_load_dwordx2 v[24:25], v[24:25], off offset:1864
	v_mov_b32_e32 v19, v15
	v_lshlrev_b64 v[18:19], 2, v[18:19]
	v_add_co_u32_e32 v18, vcc, s12, v18
	v_addc_co_u32_e32 v19, vcc, v43, v19, vcc
	global_load_dwordx2 v[26:27], v[18:19], off offset:1864
	v_mov_b32_e32 v18, v15
	v_lshlrev_b64 v[17:18], 2, v[17:18]
	v_add_co_u32_e32 v17, vcc, s12, v17
	v_addc_co_u32_e32 v18, vcc, v43, v18, vcc
	;; [unrolled: 5-line block ×3, first 2 shown]
	global_load_dwordx2 v[16:17], v[16:17], off offset:1864
	ds_read_b32 v14, v10
	ds_read_b32 v34, v23
	;; [unrolled: 1-line block ×5, first 2 shown]
	ds_read_b32 v40, v10 offset:5148
	ds_read2_b32 v[28:29], v47 offset0:29 offset1:146
	ds_read2_b32 v[30:31], v38 offset0:51 offset1:168
	;; [unrolled: 1-line block ×3, first 2 shown]
	s_waitcnt lgkmcnt(8)
	v_lshrrev_b32_e32 v41, 16, v14
	s_waitcnt lgkmcnt(4)
	v_lshrrev_b32_e32 v46, 16, v39
	;; [unrolled: 2-line block ×4, first 2 shown]
	v_lshrrev_b32_e32 v45, 16, v40
	v_lshrrev_b32_e32 v38, 16, v34
	;; [unrolled: 1-line block ×4, first 2 shown]
	s_waitcnt vmcnt(0) lgkmcnt(0)
	s_barrier
	v_cmp_ne_u32_e32 vcc, 0, v5
	v_mul_f16_sdwa v47, v24, v46 dst_sel:DWORD dst_unused:UNUSED_PAD src0_sel:WORD_1 src1_sel:DWORD
	v_fma_f16 v47, v24, v39, -v47
	v_mul_f16_sdwa v39, v24, v39 dst_sel:DWORD dst_unused:UNUSED_PAD src0_sel:WORD_1 src1_sel:DWORD
	v_fma_f16 v24, v24, v46, v39
	v_lshrrev_b32_e32 v39, 16, v31
	v_mul_f16_sdwa v46, v25, v39 dst_sel:DWORD dst_unused:UNUSED_PAD src0_sel:WORD_1 src1_sel:DWORD
	v_fma_f16 v46, v25, v31, -v46
	v_mul_f16_sdwa v31, v25, v31 dst_sel:DWORD dst_unused:UNUSED_PAD src0_sel:WORD_1 src1_sel:DWORD
	v_fma_f16 v25, v25, v39, v31
	v_lshrrev_b32_e32 v31, 16, v32
	;; [unrolled: 5-line block ×4, first 2 shown]
	v_mul_f16_sdwa v31, v18, v28 dst_sel:DWORD dst_unused:UNUSED_PAD src0_sel:WORD_1 src1_sel:DWORD
	v_fma_f16 v31, v18, v33, -v31
	v_mul_f16_sdwa v33, v18, v33 dst_sel:DWORD dst_unused:UNUSED_PAD src0_sel:WORD_1 src1_sel:DWORD
	v_fma_f16 v18, v18, v28, v33
	v_mul_f16_sdwa v28, v42, v19 dst_sel:DWORD dst_unused:UNUSED_PAD src0_sel:DWORD src1_sel:WORD_1
	v_fma_f16 v28, v29, v19, -v28
	v_mul_f16_sdwa v29, v29, v19 dst_sel:DWORD dst_unused:UNUSED_PAD src0_sel:DWORD src1_sel:WORD_1
	v_fma_f16 v19, v42, v19, v29
	v_mul_f16_sdwa v29, v44, v16 dst_sel:DWORD dst_unused:UNUSED_PAD src0_sel:DWORD src1_sel:WORD_1
	v_fma_f16 v29, v30, v16, -v29
	v_mul_f16_sdwa v30, v30, v16 dst_sel:DWORD dst_unused:UNUSED_PAD src0_sel:DWORD src1_sel:WORD_1
	;; [unrolled: 4-line block ×3, first 2 shown]
	v_add_f16_e32 v40, v47, v46
	v_fma_f16 v17, v45, v17, v33
	v_add_f16_e32 v33, v14, v47
	v_fma_f16 v14, v40, -0.5, v14
	v_sub_f16_e32 v40, v24, v25
	v_fma_f16 v42, v40, s4, v14
	v_fma_f16 v14, v40, s5, v14
	v_add_f16_e32 v40, v41, v24
	v_add_f16_e32 v24, v24, v25
	;; [unrolled: 1-line block ×3, first 2 shown]
	v_fma_f16 v24, v24, -0.5, v41
	v_sub_f16_e32 v25, v47, v46
	v_add_f16_e32 v44, v39, v32
	v_fma_f16 v41, v25, s5, v24
	v_fma_f16 v24, v25, s4, v24
	v_add_f16_e32 v25, v34, v39
	v_fma_f16 v34, v44, -0.5, v34
	v_sub_f16_e32 v44, v26, v27
	v_fma_f16 v45, v44, s4, v34
	v_fma_f16 v34, v44, s5, v34
	v_add_f16_e32 v44, v38, v26
	v_add_f16_e32 v26, v26, v27
	;; [unrolled: 1-line block ×3, first 2 shown]
	v_fma_f16 v26, v26, -0.5, v38
	v_sub_f16_e32 v27, v39, v32
	v_add_f16_e32 v38, v31, v28
	v_add_f16_e32 v25, v25, v32
	v_fma_f16 v32, v27, s5, v26
	v_fma_f16 v26, v27, s4, v26
	v_add_f16_e32 v27, v35, v31
	v_fma_f16 v35, v38, -0.5, v35
	v_sub_f16_e32 v38, v18, v19
	v_fma_f16 v39, v38, s4, v35
	v_fma_f16 v35, v38, s5, v35
	v_add_f16_e32 v38, v37, v18
	v_add_f16_e32 v18, v18, v19
	;; [unrolled: 1-line block ×3, first 2 shown]
	v_fma_f16 v18, v18, -0.5, v37
	v_sub_f16_e32 v19, v31, v28
	v_add_f16_e32 v31, v29, v30
	v_add_f16_e32 v27, v27, v28
	v_fma_f16 v28, v19, s5, v18
	v_fma_f16 v18, v19, s4, v18
	v_add_f16_e32 v19, v36, v29
	v_fma_f16 v31, v31, -0.5, v36
	v_sub_f16_e32 v36, v16, v17
	v_fma_f16 v37, v36, s4, v31
	v_fma_f16 v31, v36, s5, v31
	v_add_f16_e32 v36, v43, v16
	v_add_f16_e32 v16, v16, v17
	;; [unrolled: 1-line block ×4, first 2 shown]
	v_fma_f16 v16, v16, -0.5, v43
	v_sub_f16_e32 v17, v29, v30
	v_fma_f16 v29, v17, s5, v16
	v_fma_f16 v16, v17, s4, v16
	v_pack_b32_f16 v17, v33, v40
	v_pack_b32_f16 v14, v14, v24
	ds_write_b32 v10, v17
	v_pack_b32_f16 v17, v42, v41
	ds_write_b32 v10, v14 offset:3744
	v_pack_b32_f16 v14, v25, v44
	ds_write_b32 v10, v17 offset:1872
	ds_write_b32 v23, v14
	v_pack_b32_f16 v14, v45, v32
	ds_write_b32 v23, v14 offset:1872
	v_pack_b32_f16 v14, v34, v26
	ds_write_b32 v23, v14 offset:3744
	v_pack_b32_f16 v14, v27, v38
	ds_write_b32 v22, v14
	v_pack_b32_f16 v14, v39, v28
	v_add_f16_e32 v19, v19, v30
	ds_write_b32 v22, v14 offset:1872
	v_pack_b32_f16 v14, v35, v18
	ds_write_b32 v22, v14 offset:3744
	v_pack_b32_f16 v14, v19, v36
	ds_write_b32 v21, v14
	v_pack_b32_f16 v14, v37, v29
	ds_write_b32 v21, v14 offset:1872
	v_pack_b32_f16 v14, v31, v16
	ds_write_b32 v21, v14 offset:3744
	s_waitcnt lgkmcnt(0)
	s_barrier
	ds_read_b32 v14, v10
	v_sub_u32_e32 v16, 0, v6
                                        ; implicit-def: $vgpr19
                                        ; implicit-def: $vgpr17
                                        ; implicit-def: $vgpr18
	s_and_saveexec_b64 s[4:5], vcc
	s_xor_b64 s[4:5], exec, s[4:5]
	s_cbranch_execz .LBB0_19
; %bb.18:
	v_mov_b32_e32 v6, v15
	v_lshlrev_b64 v[17:18], 2, v[5:6]
	v_mov_b32_e32 v6, s7
	v_add_co_u32_e32 v17, vcc, s6, v17
	v_addc_co_u32_e32 v18, vcc, v6, v18, vcc
	global_load_dword v6, v[17:18], off
	ds_read_b32 v15, v16 offset:5616
	s_mov_b32 s8, 0xffff
	s_waitcnt lgkmcnt(0)
	v_pk_add_f16 v17, v14, v15 neg_lo:[0,1] neg_hi:[0,1]
	v_pk_add_f16 v14, v15, v14
	v_bfi_b32 v15, s8, v17, v14
	v_pk_mul_f16 v15, v15, 0.5 op_sel_hi:[1,0]
	v_bfi_b32 v14, s8, v14, v17
	v_pk_mul_f16 v17, v14, 0.5 op_sel_hi:[1,0]
	s_waitcnt vmcnt(0)
	v_pk_mul_f16 v18, v6, v15 op_sel:[1,0]
	v_pk_mul_f16 v6, v6, v15 op_sel_hi:[0,1]
	v_pk_fma_f16 v14, v14, 0.5, v18 op_sel_hi:[1,0,1]
	v_sub_f16_e32 v15, v17, v18
	v_sub_f16_sdwa v18, v18, v17 dst_sel:DWORD dst_unused:UNUSED_PAD src0_sel:WORD_1 src1_sel:WORD_1
	v_pk_add_f16 v19, v14, v6 op_sel:[0,1] op_sel_hi:[1,0]
	v_pk_add_f16 v14, v14, v6 op_sel:[0,1] op_sel_hi:[1,0] neg_lo:[0,1] neg_hi:[0,1]
	v_sub_f16_sdwa v17, v15, v6 dst_sel:DWORD dst_unused:UNUSED_PAD src0_sel:DWORD src1_sel:WORD_1
	v_bfi_b32 v19, s8, v19, v14
	v_sub_f16_e32 v18, v18, v6
                                        ; implicit-def: $vgpr14
.LBB0_19:
	s_or_saveexec_b64 s[4:5], s[4:5]
	v_sub_u32_e32 v6, 0, v8
	s_xor_b64 exec, exec, s[4:5]
	s_cbranch_execz .LBB0_21
; %bb.20:
	v_mov_b32_e32 v18, 0
	ds_read_u16 v8, v18 offset:2810
	s_waitcnt lgkmcnt(1)
	v_alignbit_b32 v15, s0, v14, 16
	v_sub_f16_sdwa v17, v14, v14 dst_sel:DWORD dst_unused:UNUSED_PAD src0_sel:DWORD src1_sel:WORD_1
	v_pk_add_f16 v14, v15, v14
	v_pack_b32_f16 v19, v14, 0
	s_waitcnt lgkmcnt(0)
	v_xor_b32_e32 v8, 0x8000, v8
	ds_write_b16 v18, v8 offset:2810
.LBB0_21:
	s_or_b64 exec, exec, s[4:5]
	v_mov_b32_e32 v8, 0
	s_waitcnt lgkmcnt(0)
	v_lshlrev_b64 v[14:15], 2, v[7:8]
	v_mov_b32_e32 v7, s7
	v_add_co_u32_e32 v14, vcc, s6, v14
	v_addc_co_u32_e32 v15, vcc, v7, v15, vcc
	global_load_dword v7, v[14:15], off
	v_mov_b32_e32 v14, v8
	v_lshlrev_b64 v[13:14], 2, v[13:14]
	v_mov_b32_e32 v15, s7
	v_add_co_u32_e32 v13, vcc, s6, v13
	v_addc_co_u32_e32 v14, vcc, v15, v14, vcc
	global_load_dword v14, v[13:14], off
	v_mov_b32_e32 v13, v8
	v_lshlrev_b64 v[12:13], 2, v[12:13]
	s_mov_b32 s4, 0xffff
	v_add_co_u32_e32 v12, vcc, s6, v12
	v_addc_co_u32_e32 v13, vcc, v15, v13, vcc
	global_load_dword v13, v[12:13], off
	ds_write_b16 v16, v18 offset:5618
	ds_write_b32 v10, v19
	ds_write_b16 v16, v17 offset:5616
	v_mov_b32_e32 v10, v8
	v_lshlrev_b64 v[9:10], 2, v[9:10]
	v_mov_b32_e32 v12, v8
	v_lshlrev_b64 v[11:12], 2, v[11:12]
	v_add_co_u32_e32 v9, vcc, s6, v9
	v_addc_co_u32_e32 v10, vcc, v15, v10, vcc
	v_mov_b32_e32 v17, s7
	v_add_co_u32_e32 v11, vcc, s6, v11
	ds_read_b32 v18, v23
	ds_read_b32 v19, v16 offset:5148
	v_addc_co_u32_e32 v12, vcc, v17, v12, vcc
	global_load_dword v15, v[9:10], off
	global_load_dword v17, v[11:12], off
	v_add_u32_e32 v0, v0, v6
	s_waitcnt lgkmcnt(0)
	v_pk_add_f16 v9, v18, v19 neg_lo:[0,1] neg_hi:[0,1]
	v_pk_add_f16 v10, v18, v19
	v_bfi_b32 v11, s4, v9, v10
	v_bfi_b32 v9, s4, v10, v9
	v_pk_mul_f16 v10, v11, 0.5 op_sel_hi:[1,0]
	v_pk_mul_f16 v9, v9, 0.5 op_sel_hi:[1,0]
	s_waitcnt vmcnt(4)
	v_pk_fma_f16 v11, v7, v10, v9 op_sel:[1,0,0]
	v_pk_mul_f16 v12, v7, v10 op_sel_hi:[0,1]
	v_pk_fma_f16 v18, v7, v10, v9 op_sel:[1,0,0] neg_lo:[1,0,0] neg_hi:[1,0,0]
	v_pk_fma_f16 v7, v7, v10, v9 op_sel:[1,0,0] neg_lo:[0,0,1] neg_hi:[0,0,1]
	v_pk_add_f16 v9, v11, v12 op_sel:[0,1] op_sel_hi:[1,0]
	v_pk_add_f16 v10, v11, v12 op_sel:[0,1] op_sel_hi:[1,0] neg_lo:[0,1] neg_hi:[0,1]
	v_pk_add_f16 v11, v18, v12 op_sel:[0,1] op_sel_hi:[1,0] neg_lo:[0,1] neg_hi:[0,1]
	v_pk_add_f16 v7, v7, v12 op_sel:[0,1] op_sel_hi:[1,0] neg_lo:[0,1] neg_hi:[0,1]
	v_bfi_b32 v9, s4, v9, v10
	v_bfi_b32 v7, s4, v11, v7
	ds_write_b32 v23, v9
	ds_write_b32 v16, v7 offset:5148
	ds_read_b32 v7, v22
	ds_read_b32 v9, v16 offset:4680
	s_waitcnt lgkmcnt(0)
	v_pk_add_f16 v10, v7, v9 neg_lo:[0,1] neg_hi:[0,1]
	v_pk_add_f16 v7, v7, v9
	v_bfi_b32 v9, s4, v10, v7
	v_bfi_b32 v7, s4, v7, v10
	v_pk_mul_f16 v9, v9, 0.5 op_sel_hi:[1,0]
	v_pk_mul_f16 v7, v7, 0.5 op_sel_hi:[1,0]
	s_waitcnt vmcnt(3)
	v_pk_fma_f16 v10, v14, v9, v7 op_sel:[1,0,0]
	v_pk_mul_f16 v11, v14, v9 op_sel_hi:[0,1]
	v_pk_fma_f16 v12, v14, v9, v7 op_sel:[1,0,0] neg_lo:[1,0,0] neg_hi:[1,0,0]
	v_pk_fma_f16 v7, v14, v9, v7 op_sel:[1,0,0] neg_lo:[0,0,1] neg_hi:[0,0,1]
	v_pk_add_f16 v9, v10, v11 op_sel:[0,1] op_sel_hi:[1,0]
	v_pk_add_f16 v10, v10, v11 op_sel:[0,1] op_sel_hi:[1,0] neg_lo:[0,1] neg_hi:[0,1]
	v_pk_add_f16 v12, v12, v11 op_sel:[0,1] op_sel_hi:[1,0] neg_lo:[0,1] neg_hi:[0,1]
	v_pk_add_f16 v7, v7, v11 op_sel:[0,1] op_sel_hi:[1,0] neg_lo:[0,1] neg_hi:[0,1]
	v_bfi_b32 v9, s4, v9, v10
	v_bfi_b32 v7, s4, v12, v7
	ds_write_b32 v22, v9
	ds_write_b32 v16, v7 offset:4680
	ds_read_b32 v7, v21
	ds_read_b32 v9, v16 offset:4212
	;; [unrolled: 22-line block ×4, first 2 shown]
	s_waitcnt lgkmcnt(0)
	v_pk_add_f16 v9, v6, v7 neg_lo:[0,1] neg_hi:[0,1]
	v_pk_add_f16 v6, v6, v7
	v_bfi_b32 v7, s4, v9, v6
	v_bfi_b32 v6, s4, v6, v9
	v_pk_mul_f16 v7, v7, 0.5 op_sel_hi:[1,0]
	v_pk_mul_f16 v6, v6, 0.5 op_sel_hi:[1,0]
	s_waitcnt vmcnt(0)
	v_pk_fma_f16 v9, v17, v7, v6 op_sel:[1,0,0]
	v_pk_mul_f16 v10, v17, v7 op_sel_hi:[0,1]
	v_pk_add_f16 v11, v9, v10 op_sel:[0,1] op_sel_hi:[1,0]
	v_pk_add_f16 v9, v9, v10 op_sel:[0,1] op_sel_hi:[1,0] neg_lo:[0,1] neg_hi:[0,1]
	v_bfi_b32 v9, s4, v11, v9
	v_pk_fma_f16 v11, v17, v7, v6 op_sel:[1,0,0] neg_lo:[1,0,0] neg_hi:[1,0,0]
	v_pk_fma_f16 v6, v17, v7, v6 op_sel:[1,0,0] neg_lo:[0,0,1] neg_hi:[0,0,1]
	v_pk_add_f16 v11, v11, v10 op_sel:[0,1] op_sel_hi:[1,0] neg_lo:[0,1] neg_hi:[0,1]
	v_pk_add_f16 v6, v6, v10 op_sel:[0,1] op_sel_hi:[1,0] neg_lo:[0,1] neg_hi:[0,1]
	ds_write_b32 v0, v9
	v_bfi_b32 v0, s4, v11, v6
	ds_write_b32 v16, v0 offset:3276
	s_waitcnt lgkmcnt(0)
	s_barrier
	s_and_saveexec_b64 s[4:5], s[0:1]
	s_cbranch_execz .LBB0_24
; %bb.22:
	v_mul_lo_u32 v0, s3, v3
	v_mul_lo_u32 v6, s2, v4
	v_mad_u64_u32 v[3:4], s[0:1], s2, v3, 0
	v_lshlrev_b64 v[1:2], 2, v[1:2]
	v_lshl_add_u32 v11, v5, 2, 0
	v_add3_u32 v4, v4, v6, v0
	v_lshlrev_b64 v[3:4], 2, v[3:4]
	v_mov_b32_e32 v0, s11
	v_add_co_u32_e32 v3, vcc, s10, v3
	v_addc_co_u32_e32 v0, vcc, v0, v4, vcc
	v_mov_b32_e32 v6, v8
	ds_read2_b32 v[9:10], v11 offset1:117
	v_add_co_u32_e32 v1, vcc, v3, v1
	v_addc_co_u32_e32 v0, vcc, v0, v2, vcc
	v_lshlrev_b64 v[2:3], 2, v[5:6]
	v_add_u32_e32 v7, 0x75, v5
	v_add_co_u32_e32 v2, vcc, v1, v2
	v_addc_co_u32_e32 v3, vcc, v0, v3, vcc
	s_waitcnt lgkmcnt(0)
	global_store_dword v[2:3], v9, off
	v_lshlrev_b64 v[2:3], 2, v[7:8]
	v_add_u32_e32 v7, 0xea, v5
	v_add_co_u32_e32 v2, vcc, v1, v2
	v_addc_co_u32_e32 v3, vcc, v0, v3, vcc
	global_store_dword v[2:3], v10, off
	v_add_u32_e32 v2, 0x200, v11
	ds_read2_b32 v[2:3], v2 offset0:106 offset1:223
	v_lshlrev_b64 v[6:7], 2, v[7:8]
	s_movk_i32 s0, 0x74
	v_add_co_u32_e32 v6, vcc, v1, v6
	v_addc_co_u32_e32 v7, vcc, v0, v7, vcc
	s_waitcnt lgkmcnt(0)
	global_store_dword v[6:7], v2, off
	v_add_u32_e32 v7, 0x15f, v5
	v_lshlrev_b64 v[6:7], 2, v[7:8]
	v_add_u32_e32 v2, 0x600, v11
	v_add_co_u32_e32 v6, vcc, v1, v6
	v_addc_co_u32_e32 v7, vcc, v0, v7, vcc
	global_store_dword v[6:7], v3, off
	v_add_u32_e32 v7, 0x1d4, v5
	ds_read2_b32 v[2:3], v2 offset0:84 offset1:201
	v_lshlrev_b64 v[6:7], 2, v[7:8]
	v_add_co_u32_e32 v6, vcc, v1, v6
	v_addc_co_u32_e32 v7, vcc, v0, v7, vcc
	s_waitcnt lgkmcnt(0)
	global_store_dword v[6:7], v2, off
	v_add_u32_e32 v7, 0x249, v5
	v_lshlrev_b64 v[6:7], 2, v[7:8]
	v_add_u32_e32 v2, 0xa00, v11
	v_add_co_u32_e32 v6, vcc, v1, v6
	v_addc_co_u32_e32 v7, vcc, v0, v7, vcc
	global_store_dword v[6:7], v3, off
	v_add_u32_e32 v7, 0x2be, v5
	ds_read2_b32 v[2:3], v2 offset0:62 offset1:179
	v_lshlrev_b64 v[6:7], 2, v[7:8]
	;; [unrolled: 13-line block ×4, first 2 shown]
	v_add_co_u32_e32 v6, vcc, v1, v6
	v_addc_co_u32_e32 v7, vcc, v0, v7, vcc
	s_waitcnt lgkmcnt(0)
	global_store_dword v[6:7], v2, off
	v_add_u32_e32 v7, 0x507, v5
	v_lshlrev_b64 v[6:7], 2, v[7:8]
	v_add_co_u32_e32 v6, vcc, v1, v6
	v_addc_co_u32_e32 v7, vcc, v0, v7, vcc
	v_cmp_eq_u32_e32 vcc, s0, v5
	global_store_dword v[6:7], v3, off
	s_and_b64 exec, exec, vcc
	s_cbranch_execz .LBB0_24
; %bb.23:
	v_mov_b32_e32 v2, 0
	ds_read_b32 v3, v2 offset:5616
	v_add_co_u32_e32 v1, vcc, 0x1000, v1
	v_addc_co_u32_e32 v2, vcc, 0, v0, vcc
	s_waitcnt lgkmcnt(0)
	global_store_dword v[1:2], v3, off offset:1520
.LBB0_24:
	s_endpgm
	.section	.rodata,"a",@progbits
	.p2align	6, 0x0
	.amdhsa_kernel fft_rtc_fwd_len1404_factors_2_2_3_13_3_3_wgs_117_tpt_117_halfLds_half_op_CI_CI_unitstride_sbrr_R2C_dirReg
		.amdhsa_group_segment_fixed_size 0
		.amdhsa_private_segment_fixed_size 0
		.amdhsa_kernarg_size 104
		.amdhsa_user_sgpr_count 6
		.amdhsa_user_sgpr_private_segment_buffer 1
		.amdhsa_user_sgpr_dispatch_ptr 0
		.amdhsa_user_sgpr_queue_ptr 0
		.amdhsa_user_sgpr_kernarg_segment_ptr 1
		.amdhsa_user_sgpr_dispatch_id 0
		.amdhsa_user_sgpr_flat_scratch_init 0
		.amdhsa_user_sgpr_private_segment_size 0
		.amdhsa_uses_dynamic_stack 0
		.amdhsa_system_sgpr_private_segment_wavefront_offset 0
		.amdhsa_system_sgpr_workgroup_id_x 1
		.amdhsa_system_sgpr_workgroup_id_y 0
		.amdhsa_system_sgpr_workgroup_id_z 0
		.amdhsa_system_sgpr_workgroup_info 0
		.amdhsa_system_vgpr_workitem_id 0
		.amdhsa_next_free_vgpr 149
		.amdhsa_next_free_sgpr 28
		.amdhsa_reserve_vcc 1
		.amdhsa_reserve_flat_scratch 0
		.amdhsa_float_round_mode_32 0
		.amdhsa_float_round_mode_16_64 0
		.amdhsa_float_denorm_mode_32 3
		.amdhsa_float_denorm_mode_16_64 3
		.amdhsa_dx10_clamp 1
		.amdhsa_ieee_mode 1
		.amdhsa_fp16_overflow 0
		.amdhsa_exception_fp_ieee_invalid_op 0
		.amdhsa_exception_fp_denorm_src 0
		.amdhsa_exception_fp_ieee_div_zero 0
		.amdhsa_exception_fp_ieee_overflow 0
		.amdhsa_exception_fp_ieee_underflow 0
		.amdhsa_exception_fp_ieee_inexact 0
		.amdhsa_exception_int_div_zero 0
	.end_amdhsa_kernel
	.text
.Lfunc_end0:
	.size	fft_rtc_fwd_len1404_factors_2_2_3_13_3_3_wgs_117_tpt_117_halfLds_half_op_CI_CI_unitstride_sbrr_R2C_dirReg, .Lfunc_end0-fft_rtc_fwd_len1404_factors_2_2_3_13_3_3_wgs_117_tpt_117_halfLds_half_op_CI_CI_unitstride_sbrr_R2C_dirReg
                                        ; -- End function
	.section	.AMDGPU.csdata,"",@progbits
; Kernel info:
; codeLenInByte = 11292
; NumSgprs: 32
; NumVgprs: 149
; ScratchSize: 0
; MemoryBound: 0
; FloatMode: 240
; IeeeMode: 1
; LDSByteSize: 0 bytes/workgroup (compile time only)
; SGPRBlocks: 3
; VGPRBlocks: 37
; NumSGPRsForWavesPerEU: 32
; NumVGPRsForWavesPerEU: 149
; Occupancy: 1
; WaveLimiterHint : 1
; COMPUTE_PGM_RSRC2:SCRATCH_EN: 0
; COMPUTE_PGM_RSRC2:USER_SGPR: 6
; COMPUTE_PGM_RSRC2:TRAP_HANDLER: 0
; COMPUTE_PGM_RSRC2:TGID_X_EN: 1
; COMPUTE_PGM_RSRC2:TGID_Y_EN: 0
; COMPUTE_PGM_RSRC2:TGID_Z_EN: 0
; COMPUTE_PGM_RSRC2:TIDIG_COMP_CNT: 0
	.type	__hip_cuid_a570c1a7ade89426,@object ; @__hip_cuid_a570c1a7ade89426
	.section	.bss,"aw",@nobits
	.globl	__hip_cuid_a570c1a7ade89426
__hip_cuid_a570c1a7ade89426:
	.byte	0                               ; 0x0
	.size	__hip_cuid_a570c1a7ade89426, 1

	.ident	"AMD clang version 19.0.0git (https://github.com/RadeonOpenCompute/llvm-project roc-6.4.0 25133 c7fe45cf4b819c5991fe208aaa96edf142730f1d)"
	.section	".note.GNU-stack","",@progbits
	.addrsig
	.addrsig_sym __hip_cuid_a570c1a7ade89426
	.amdgpu_metadata
---
amdhsa.kernels:
  - .args:
      - .actual_access:  read_only
        .address_space:  global
        .offset:         0
        .size:           8
        .value_kind:     global_buffer
      - .offset:         8
        .size:           8
        .value_kind:     by_value
      - .actual_access:  read_only
        .address_space:  global
        .offset:         16
        .size:           8
        .value_kind:     global_buffer
      - .actual_access:  read_only
        .address_space:  global
        .offset:         24
        .size:           8
        .value_kind:     global_buffer
      - .actual_access:  read_only
        .address_space:  global
        .offset:         32
        .size:           8
        .value_kind:     global_buffer
      - .offset:         40
        .size:           8
        .value_kind:     by_value
      - .actual_access:  read_only
        .address_space:  global
        .offset:         48
        .size:           8
        .value_kind:     global_buffer
      - .actual_access:  read_only
        .address_space:  global
        .offset:         56
        .size:           8
        .value_kind:     global_buffer
      - .offset:         64
        .size:           4
        .value_kind:     by_value
      - .actual_access:  read_only
        .address_space:  global
        .offset:         72
        .size:           8
        .value_kind:     global_buffer
      - .actual_access:  read_only
        .address_space:  global
        .offset:         80
        .size:           8
        .value_kind:     global_buffer
      - .actual_access:  read_only
        .address_space:  global
        .offset:         88
        .size:           8
        .value_kind:     global_buffer
      - .actual_access:  write_only
        .address_space:  global
        .offset:         96
        .size:           8
        .value_kind:     global_buffer
    .group_segment_fixed_size: 0
    .kernarg_segment_align: 8
    .kernarg_segment_size: 104
    .language:       OpenCL C
    .language_version:
      - 2
      - 0
    .max_flat_workgroup_size: 117
    .name:           fft_rtc_fwd_len1404_factors_2_2_3_13_3_3_wgs_117_tpt_117_halfLds_half_op_CI_CI_unitstride_sbrr_R2C_dirReg
    .private_segment_fixed_size: 0
    .sgpr_count:     32
    .sgpr_spill_count: 0
    .symbol:         fft_rtc_fwd_len1404_factors_2_2_3_13_3_3_wgs_117_tpt_117_halfLds_half_op_CI_CI_unitstride_sbrr_R2C_dirReg.kd
    .uniform_work_group_size: 1
    .uses_dynamic_stack: false
    .vgpr_count:     149
    .vgpr_spill_count: 0
    .wavefront_size: 64
amdhsa.target:   amdgcn-amd-amdhsa--gfx906
amdhsa.version:
  - 1
  - 2
...

	.end_amdgpu_metadata
